;; amdgpu-corpus repo=ROCm/rocFFT kind=compiled arch=gfx906 opt=O3
	.text
	.amdgcn_target "amdgcn-amd-amdhsa--gfx906"
	.amdhsa_code_object_version 6
	.protected	bluestein_single_fwd_len34_dim1_dp_op_CI_CI ; -- Begin function bluestein_single_fwd_len34_dim1_dp_op_CI_CI
	.globl	bluestein_single_fwd_len34_dim1_dp_op_CI_CI
	.p2align	8
	.type	bluestein_single_fwd_len34_dim1_dp_op_CI_CI,@function
bluestein_single_fwd_len34_dim1_dp_op_CI_CI: ; @bluestein_single_fwd_len34_dim1_dp_op_CI_CI
; %bb.0:
	s_mov_b64 s[62:63], s[2:3]
	v_mul_u32_u24_e32 v1, 0xf10, v0
	s_mov_b64 s[60:61], s[0:1]
	s_load_dwordx4 s[0:3], s[4:5], 0x28
	v_lshrrev_b32_e32 v1, 16, v1
	s_add_u32 s60, s60, s7
	v_mad_u64_u32 v[128:129], s[6:7], s6, 15, v[1:2]
	v_mov_b32_e32 v129, 0
	s_addc_u32 s61, s61, 0
	s_waitcnt lgkmcnt(0)
	v_cmp_gt_u64_e32 vcc, s[0:1], v[128:129]
	s_and_saveexec_b64 s[0:1], vcc
	s_cbranch_execz .LBB0_15
; %bb.1:
	s_mov_b32 s0, 0x88888889
	v_mul_hi_u32 v2, v128, s0
	s_load_dwordx2 s[6:7], s[4:5], 0x0
	s_load_dwordx2 s[12:13], s[4:5], 0x38
	v_mul_lo_u16_e32 v1, 17, v1
	v_sub_u16_e32 v255, v0, v1
	v_lshrrev_b32_e32 v2, 3, v2
	v_mul_lo_u32 v2, v2, 15
	v_cmp_gt_u16_e32 vcc, 2, v255
	v_lshlrev_b32_e32 v215, 4, v255
	v_or_b32_e32 v201, 2, v255
	v_sub_u32_e32 v0, v128, v2
	v_mul_u32_u24_e32 v202, 34, v0
	v_or_b32_e32 v0, v202, v255
	v_lshlrev_b32_e32 v216, 4, v0
	v_or_b32_e32 v218, 4, v255
	v_or_b32_e32 v217, 6, v255
	;; [unrolled: 1-line block ×12, first 2 shown]
	s_and_saveexec_b64 s[14:15], vcc
	s_cbranch_execz .LBB0_3
; %bb.2:
	s_load_dwordx2 s[0:1], s[4:5], 0x18
	v_or_b32_e32 v109, 28, v255
	v_or_b32_e32 v120, 30, v255
	;; [unrolled: 1-line block ×3, first 2 shown]
	s_waitcnt lgkmcnt(0)
	s_load_dwordx4 s[8:11], s[0:1], 0x0
	s_waitcnt lgkmcnt(0)
	v_mad_u64_u32 v[0:1], s[0:1], s10, v128, 0
	v_mad_u64_u32 v[2:3], s[0:1], s8, v255, 0
	;; [unrolled: 1-line block ×4, first 2 shown]
	v_mov_b32_e32 v1, v4
	v_lshlrev_b64 v[0:1], 4, v[0:1]
	v_mov_b32_e32 v3, v5
	v_mov_b32_e32 v6, s3
	v_lshlrev_b64 v[2:3], 4, v[2:3]
	v_add_co_u32_e64 v50, s[0:1], s2, v0
	v_addc_co_u32_e64 v51, s[0:1], v6, v1, s[0:1]
	v_add_co_u32_e64 v28, s[0:1], v50, v2
	v_addc_co_u32_e64 v29, s[0:1], v51, v3, s[0:1]
	global_load_dwordx4 v[0:3], v[28:29], off
	global_load_dwordx4 v[4:7], v215, s[6:7]
	global_load_dwordx4 v[8:11], v215, s[6:7] offset:32
	global_load_dwordx4 v[12:15], v215, s[6:7] offset:64
	;; [unrolled: 1-line block ×5, first 2 shown]
	v_mad_u64_u32 v[28:29], s[0:1], s8, v201, 0
	v_mad_u64_u32 v[30:31], s[0:1], s8, v218, 0
	;; [unrolled: 1-line block ×11, first 2 shown]
	v_mov_b32_e32 v29, v41
	v_mov_b32_e32 v40, v53
	v_mad_u64_u32 v[45:46], s[0:1], s9, v213, v[37:38]
	v_lshlrev_b64 v[28:29], 4, v[28:29]
	v_mad_u64_u32 v[46:47], s[0:1], s9, v212, v[39:40]
	v_mad_u64_u32 v[53:54], s[0:1], s9, v211, v[40:41]
	v_mov_b32_e32 v31, v42
	v_lshlrev_b64 v[30:31], 4, v[30:31]
	v_add_co_u32_e64 v48, s[0:1], v50, v28
	v_mov_b32_e32 v33, v43
	v_addc_co_u32_e64 v49, s[0:1], v51, v29, s[0:1]
	v_lshlrev_b64 v[32:33], 4, v[32:33]
	v_add_co_u32_e64 v56, s[0:1], v50, v30
	v_mov_b32_e32 v35, v44
	v_addc_co_u32_e64 v57, s[0:1], v51, v31, s[0:1]
	;; [unrolled: 4-line block ×4, first 2 shown]
	v_lshlrev_b64 v[54:55], 4, v[38:39]
	v_add_co_u32_e64 v62, s[0:1], v50, v36
	v_addc_co_u32_e64 v63, s[0:1], v51, v37, s[0:1]
	global_load_dwordx4 v[44:47], v[48:49], off
	global_load_dwordx4 v[40:43], v[56:57], off
	global_load_dwordx4 v[36:39], v[58:59], off
	global_load_dwordx4 v[32:35], v[60:61], off
	global_load_dwordx4 v[28:31], v[62:63], off
	v_add_co_u32_e64 v60, s[0:1], v50, v54
	v_addc_co_u32_e64 v61, s[0:1], v51, v55, s[0:1]
	v_mad_u64_u32 v[68:69], s[0:1], s8, v210, 0
	v_lshlrev_b64 v[52:53], 4, v[52:53]
	v_add_co_u32_e64 v62, s[0:1], v50, v52
	v_addc_co_u32_e64 v63, s[0:1], v51, v53, s[0:1]
	global_load_dwordx4 v[52:55], v[60:61], off
	global_load_dwordx4 v[56:59], v[62:63], off
	v_mov_b32_e32 v60, v69
	v_mad_u64_u32 v[69:70], s[0:1], s9, v210, v[60:61]
	v_mad_u64_u32 v[70:71], s[0:1], s8, v209, 0
	v_lshlrev_b64 v[68:69], 4, v[68:69]
	global_load_dwordx4 v[60:63], v215, s[6:7] offset:192
	global_load_dwordx4 v[64:67], v215, s[6:7] offset:224
	v_mad_u64_u32 v[71:72], s[0:1], s9, v209, v[71:72]
	v_add_co_u32_e64 v76, s[0:1], v50, v68
	v_addc_co_u32_e64 v77, s[0:1], v51, v69, s[0:1]
	v_mad_u64_u32 v[84:85], s[0:1], s8, v208, 0
	v_lshlrev_b64 v[68:69], 4, v[70:71]
	s_waitcnt vmcnt(14)
	v_mul_f64 v[48:49], v[2:3], v[6:7]
	v_add_co_u32_e64 v78, s[0:1], v50, v68
	v_addc_co_u32_e64 v79, s[0:1], v51, v69, s[0:1]
	global_load_dwordx4 v[68:71], v[76:77], off
	global_load_dwordx4 v[72:75], v[78:79], off
	v_mov_b32_e32 v76, v85
	v_mad_u64_u32 v[85:86], s[0:1], s9, v208, v[76:77]
	v_mad_u64_u32 v[86:87], s[0:1], s8, v207, 0
	v_lshlrev_b64 v[84:85], 4, v[84:85]
	global_load_dwordx4 v[76:79], v215, s[6:7] offset:256
	global_load_dwordx4 v[80:83], v215, s[6:7] offset:288
	v_mad_u64_u32 v[87:88], s[0:1], s9, v207, v[87:88]
	v_add_co_u32_e64 v92, s[0:1], v50, v84
	v_addc_co_u32_e64 v93, s[0:1], v51, v85, s[0:1]
	v_mad_u64_u32 v[100:101], s[0:1], s8, v250, 0
	v_lshlrev_b64 v[84:85], 4, v[86:87]
	v_mul_f64 v[6:7], v[0:1], v[6:7]
	v_add_co_u32_e64 v94, s[0:1], v50, v84
	v_addc_co_u32_e64 v95, s[0:1], v51, v85, s[0:1]
	global_load_dwordx4 v[84:87], v[92:93], off
	global_load_dwordx4 v[88:91], v[94:95], off
	v_mov_b32_e32 v92, v101
	v_mad_u64_u32 v[101:102], s[0:1], s9, v250, v[92:93]
	v_mad_u64_u32 v[102:103], s[0:1], s8, v249, 0
	v_lshlrev_b64 v[100:101], 4, v[100:101]
	global_load_dwordx4 v[92:95], v215, s[6:7] offset:320
	global_load_dwordx4 v[96:99], v215, s[6:7] offset:352
	v_mad_u64_u32 v[103:104], s[0:1], s9, v249, v[103:104]
	v_add_co_u32_e64 v100, s[0:1], v50, v100
	v_addc_co_u32_e64 v101, s[0:1], v51, v101, s[0:1]
	v_mad_u64_u32 v[116:117], s[0:1], s8, v109, 0
	v_lshlrev_b64 v[102:103], 4, v[102:103]
	v_fma_f64 v[0:1], v[0:1], v[4:5], v[48:49]
	v_add_co_u32_e64 v104, s[0:1], v50, v102
	v_mov_b32_e32 v108, v117
	v_addc_co_u32_e64 v105, s[0:1], v51, v103, s[0:1]
	v_mad_u64_u32 v[117:118], s[0:1], s9, v109, v[108:109]
	v_mad_u64_u32 v[118:119], s[0:1], s8, v120, 0
	v_lshlrev_b64 v[116:117], 4, v[116:117]
	global_load_dwordx4 v[100:103], v[100:101], off
	s_nop 0
	global_load_dwordx4 v[104:107], v[104:105], off
	v_mad_u64_u32 v[119:120], s[0:1], s9, v120, v[119:120]
	v_add_co_u32_e64 v116, s[0:1], v50, v116
	v_addc_co_u32_e64 v117, s[0:1], v51, v117, s[0:1]
	v_mad_u64_u32 v[133:134], s[0:1], s8, v122, 0
	v_lshlrev_b64 v[118:119], 4, v[118:119]
	global_load_dwordx4 v[108:111], v215, s[6:7] offset:384
	global_load_dwordx4 v[112:115], v215, s[6:7] offset:416
	v_add_co_u32_e64 v120, s[0:1], v50, v118
	v_mov_b32_e32 v118, v134
	v_addc_co_u32_e64 v121, s[0:1], v51, v119, s[0:1]
	v_mad_u64_u32 v[134:135], s[0:1], s9, v122, v[118:119]
	global_load_dwordx4 v[116:119], v[116:117], off
	s_nop 0
	global_load_dwordx4 v[120:123], v[120:121], off
	s_nop 0
	global_load_dwordx4 v[124:127], v215, s[6:7] offset:448
	global_load_dwordx4 v[129:132], v215, s[6:7] offset:480
	v_fma_f64 v[2:3], v[2:3], v[4:5], -v[6:7]
	v_lshlrev_b64 v[133:134], 4, v[133:134]
	s_waitcnt vmcnt(24)
	v_mul_f64 v[4:5], v[46:47], v[10:11]
	v_add_co_u32_e64 v50, s[0:1], v50, v133
	v_addc_co_u32_e64 v51, s[0:1], v51, v134, s[0:1]
	global_load_dwordx4 v[133:136], v[50:51], off
	global_load_dwordx4 v[137:140], v215, s[6:7] offset:512
	ds_write_b128 v216, v[0:3]
	v_mul_f64 v[2:3], v[44:45], v[10:11]
	v_fma_f64 v[0:1], v[44:45], v[8:9], v[4:5]
	s_waitcnt vmcnt(25)
	v_mul_f64 v[4:5], v[42:43], v[14:15]
	v_mul_f64 v[6:7], v[40:41], v[14:15]
	s_waitcnt vmcnt(24)
	v_mul_f64 v[10:11], v[38:39], v[18:19]
	v_mul_f64 v[14:15], v[36:37], v[18:19]
	s_waitcnt vmcnt(23)
	v_mul_f64 v[18:19], v[34:35], v[22:23]
	v_mul_f64 v[22:23], v[32:33], v[22:23]
	v_fma_f64 v[2:3], v[46:47], v[8:9], -v[2:3]
	v_lshl_add_u32 v44, v202, 4, v215
	v_fma_f64 v[4:5], v[40:41], v[12:13], v[4:5]
	v_fma_f64 v[6:7], v[42:43], v[12:13], -v[6:7]
	v_fma_f64 v[8:9], v[36:37], v[16:17], v[10:11]
	v_fma_f64 v[10:11], v[38:39], v[16:17], -v[14:15]
	v_fma_f64 v[12:13], v[32:33], v[20:21], v[18:19]
	s_waitcnt vmcnt(22)
	v_mul_f64 v[16:17], v[30:31], v[26:27]
	v_mul_f64 v[18:19], v[28:29], v[26:27]
	v_fma_f64 v[14:15], v[34:35], v[20:21], -v[22:23]
	s_waitcnt vmcnt(19)
	v_mul_f64 v[20:21], v[54:55], v[62:63]
	v_mul_f64 v[22:23], v[52:53], v[62:63]
	s_waitcnt vmcnt(18)
	v_mul_f64 v[26:27], v[58:59], v[66:67]
	v_mul_f64 v[32:33], v[56:57], v[66:67]
	;; [unrolled: 3-line block ×3, first 2 shown]
	v_fma_f64 v[16:17], v[28:29], v[24:25], v[16:17]
	v_fma_f64 v[18:19], v[30:31], v[24:25], -v[18:19]
	v_fma_f64 v[20:21], v[52:53], v[60:61], v[20:21]
	v_fma_f64 v[22:23], v[54:55], v[60:61], -v[22:23]
	;; [unrolled: 2-line block ×4, first 2 shown]
	ds_write_b128 v44, v[0:3] offset:32
	ds_write_b128 v44, v[4:7] offset:64
	;; [unrolled: 1-line block ×8, first 2 shown]
	s_waitcnt vmcnt(14)
	v_mul_f64 v[0:1], v[74:75], v[82:83]
	v_mul_f64 v[2:3], v[72:73], v[82:83]
	s_waitcnt vmcnt(11)
	v_mul_f64 v[4:5], v[86:87], v[94:95]
	v_mul_f64 v[6:7], v[84:85], v[94:95]
	;; [unrolled: 3-line block ×3, first 2 shown]
	v_fma_f64 v[0:1], v[72:73], v[80:81], v[0:1]
	v_fma_f64 v[2:3], v[74:75], v[80:81], -v[2:3]
	v_fma_f64 v[4:5], v[84:85], v[92:93], v[4:5]
	v_fma_f64 v[6:7], v[86:87], v[92:93], -v[6:7]
	;; [unrolled: 2-line block ×3, first 2 shown]
	s_waitcnt vmcnt(7)
	v_mul_f64 v[12:13], v[102:103], v[110:111]
	v_mul_f64 v[14:15], v[100:101], v[110:111]
	s_waitcnt vmcnt(6)
	v_mul_f64 v[16:17], v[106:107], v[114:115]
	v_mul_f64 v[18:19], v[104:105], v[114:115]
	;; [unrolled: 3-line block ×4, first 2 shown]
	v_fma_f64 v[12:13], v[100:101], v[108:109], v[12:13]
	v_fma_f64 v[14:15], v[102:103], v[108:109], -v[14:15]
	v_fma_f64 v[16:17], v[104:105], v[112:113], v[16:17]
	v_fma_f64 v[18:19], v[106:107], v[112:113], -v[18:19]
	v_fma_f64 v[20:21], v[116:117], v[124:125], v[20:21]
	s_waitcnt vmcnt(0)
	v_mul_f64 v[28:29], v[135:136], v[139:140]
	v_mul_f64 v[30:31], v[133:134], v[139:140]
	v_fma_f64 v[22:23], v[118:119], v[124:125], -v[22:23]
	v_fma_f64 v[24:25], v[120:121], v[129:130], v[24:25]
	v_fma_f64 v[26:27], v[122:123], v[129:130], -v[26:27]
	v_fma_f64 v[28:29], v[133:134], v[137:138], v[28:29]
	v_fma_f64 v[30:31], v[135:136], v[137:138], -v[30:31]
	ds_write_b128 v44, v[0:3] offset:288
	ds_write_b128 v44, v[4:7] offset:320
	;; [unrolled: 1-line block ×8, first 2 shown]
.LBB0_3:
	s_or_b64 exec, exec, s[14:15]
	s_load_dwordx2 s[0:1], s[4:5], 0x20
	s_load_dwordx2 s[8:9], s[4:5], 0x8
	v_lshlrev_b32_e32 v251, 4, v202
	s_waitcnt lgkmcnt(0)
	s_barrier
	s_waitcnt lgkmcnt(0)
                                        ; implicit-def: $vgpr18_vgpr19
                                        ; implicit-def: $vgpr42_vgpr43
                                        ; implicit-def: $vgpr62_vgpr63
                                        ; implicit-def: $vgpr58_vgpr59
                                        ; implicit-def: $vgpr54_vgpr55
                                        ; implicit-def: $vgpr50_vgpr51
                                        ; implicit-def: $vgpr46_vgpr47
                                        ; implicit-def: $vgpr38_vgpr39
                                        ; implicit-def: $vgpr34_vgpr35
                                        ; implicit-def: $vgpr26_vgpr27
                                        ; implicit-def: $vgpr22_vgpr23
                                        ; implicit-def: $vgpr14_vgpr15
                                        ; implicit-def: $vgpr2_vgpr3
                                        ; implicit-def: $vgpr6_vgpr7
                                        ; implicit-def: $vgpr70_vgpr71
                                        ; implicit-def: $vgpr28_vgpr29
                                        ; implicit-def: $vgpr8_vgpr9
	s_and_saveexec_b64 s[2:3], vcc
	s_cbranch_execz .LBB0_5
; %bb.4:
	v_lshl_add_u32 v8, v255, 4, v251
	ds_read_b128 v[4:7], v8 offset:32
	ds_read_b128 v[0:3], v8 offset:64
	;; [unrolled: 1-line block ×16, first 2 shown]
	ds_read_b128 v[68:71], v216
.LBB0_5:
	s_or_b64 exec, exec, s[2:3]
	s_waitcnt lgkmcnt(1)
	v_add_f64 v[64:65], v[6:7], -v[10:11]
	s_mov_b32 s28, 0x4363dd80
	s_mov_b32 s29, 0xbfe0d888
	v_add_f64 v[66:67], v[4:5], -v[8:9]
	v_add_f64 v[129:130], v[4:5], v[8:9]
	s_mov_b32 s30, 0x910ea3b9
	s_mov_b32 s34, 0xacd6c6b4
	;; [unrolled: 1-line block ×3, first 2 shown]
	v_mul_f64 v[112:113], v[64:65], s[28:29]
	s_mov_b32 s35, 0xbfc7851a
	v_add_f64 v[131:132], v[6:7], v[10:11]
	v_mul_f64 v[114:115], v[66:67], s[28:29]
	v_mul_f64 v[124:125], v[64:65], s[34:35]
	s_mov_b32 s46, 0x5d8e7cdc
	s_mov_b32 s40, 0x2a9d6da3
	;; [unrolled: 1-line block ×3, first 2 shown]
	v_fma_f64 v[120:121], v[129:130], s[30:31], -v[112:113]
	v_fma_f64 v[112:113], v[129:130], s[30:31], v[112:113]
	s_mov_b32 s16, 0xeb564b22
	s_mov_b32 s20, 0x923c349f
	;; [unrolled: 1-line block ×11, first 2 shown]
	v_mul_f64 v[133:134], v[64:65], s[46:47]
	v_mul_f64 v[72:73], v[64:65], s[40:41]
	v_mul_f64 v[80:81], v[64:65], s[10:11]
	v_mul_f64 v[92:93], v[64:65], s[16:17]
	v_mul_f64 v[96:97], v[64:65], s[20:21]
	v_mul_f64 v[108:109], v[64:65], s[26:27]
	v_fma_f64 v[122:123], v[131:132], s[30:31], v[114:115]
	v_fma_f64 v[114:115], v[131:132], s[30:31], -v[114:115]
	v_mul_f64 v[126:127], v[66:67], s[34:35]
	s_waitcnt lgkmcnt(0)
	v_add_f64 v[64:65], v[68:69], v[112:113]
	v_add_f64 v[112:113], v[2:3], -v[30:31]
	v_fma_f64 v[145:146], v[129:130], s[36:37], -v[124:125]
	s_mov_b32 s2, 0x370991
	s_mov_b32 s4, 0x75d4884
	;; [unrolled: 1-line block ×4, first 2 shown]
	v_mul_f64 v[135:136], v[66:67], s[46:47]
	v_fma_f64 v[74:75], v[129:130], s[2:3], v[133:134]
	v_mul_f64 v[78:79], v[66:67], s[40:41]
	v_mul_f64 v[82:83], v[66:67], s[10:11]
	v_fma_f64 v[84:85], v[129:130], s[4:5], -v[72:73]
	v_mul_f64 v[94:95], v[66:67], s[16:17]
	v_mul_f64 v[98:99], v[66:67], s[20:21]
	;; [unrolled: 1-line block ×3, first 2 shown]
	v_add_f64 v[66:67], v[70:71], v[114:115]
	v_add_f64 v[114:115], v[0:1], -v[28:29]
	v_fma_f64 v[147:148], v[131:132], s[36:37], v[126:127]
	v_add_f64 v[141:142], v[0:1], v[28:29]
	v_mul_f64 v[139:140], v[112:113], s[40:41]
	v_add_f64 v[153:154], v[68:69], v[145:146]
	v_mul_f64 v[145:146], v[112:113], s[16:17]
	s_mov_b32 s14, 0x2b2883cd
	s_mov_b32 s18, 0x3259b75e
	;; [unrolled: 1-line block ×4, first 2 shown]
	v_fma_f64 v[76:77], v[131:132], s[2:3], -v[135:136]
	v_add_f64 v[74:75], v[68:69], v[74:75]
	v_fma_f64 v[86:87], v[131:132], s[4:5], v[78:79]
	v_fma_f64 v[72:73], v[129:130], s[4:5], v[72:73]
	v_fma_f64 v[88:89], v[129:130], s[14:15], -v[80:81]
	v_add_f64 v[84:85], v[68:69], v[84:85]
	v_add_f64 v[137:138], v[2:3], v[30:31]
	v_mul_f64 v[143:144], v[114:115], s[40:41]
	v_add_f64 v[155:156], v[70:71], v[147:148]
	v_mul_f64 v[147:148], v[114:115], s[16:17]
	v_fma_f64 v[149:150], v[141:142], s[4:5], v[139:140]
	v_mul_f64 v[157:158], v[112:113], s[26:27]
	v_fma_f64 v[161:162], v[141:142], s[18:19], -v[145:146]
	s_mov_b32 s24, 0x6ed5f1bb
	s_mov_b32 s25, 0xbfe348c8
	v_add_f64 v[76:77], v[70:71], v[76:77]
	v_fma_f64 v[78:79], v[131:132], s[4:5], -v[78:79]
	v_fma_f64 v[90:91], v[131:132], s[14:15], v[82:83]
	v_fma_f64 v[80:81], v[129:130], s[14:15], v[80:81]
	v_add_f64 v[86:87], v[70:71], v[86:87]
	v_add_f64 v[72:73], v[68:69], v[72:73]
	;; [unrolled: 1-line block ×3, first 2 shown]
	v_fma_f64 v[100:101], v[129:130], s[18:19], -v[92:93]
	v_fma_f64 v[151:152], v[137:138], s[4:5], -v[143:144]
	v_mul_f64 v[159:160], v[114:115], s[26:27]
	v_fma_f64 v[163:164], v[137:138], s[18:19], v[147:148]
	v_add_f64 v[74:75], v[149:150], v[74:75]
	v_fma_f64 v[145:146], v[141:142], s[18:19], v[145:146]
	v_fma_f64 v[149:150], v[141:142], s[24:25], -v[157:158]
	v_add_f64 v[84:85], v[161:162], v[84:85]
	v_mul_f64 v[161:162], v[112:113], s[34:35]
	s_mov_b32 s22, 0xc61f0d01
	s_mov_b32 s23, 0xbfd183b1
	;; [unrolled: 1-line block ×4, first 2 shown]
	v_fma_f64 v[82:83], v[131:132], s[14:15], -v[82:83]
	v_add_f64 v[78:79], v[70:71], v[78:79]
	v_add_f64 v[90:91], v[70:71], v[90:91]
	;; [unrolled: 1-line block ×3, first 2 shown]
	v_fma_f64 v[102:103], v[131:132], s[18:19], v[94:95]
	v_fma_f64 v[92:93], v[129:130], s[18:19], v[92:93]
	v_fma_f64 v[104:105], v[129:130], s[22:23], -v[96:97]
	v_add_f64 v[100:101], v[68:69], v[100:101]
	v_add_f64 v[76:77], v[151:152], v[76:77]
	v_fma_f64 v[147:148], v[137:138], s[18:19], -v[147:148]
	v_fma_f64 v[151:152], v[137:138], s[24:25], v[159:160]
	v_add_f64 v[86:87], v[163:164], v[86:87]
	v_mul_f64 v[163:164], v[114:115], s[34:35]
	v_add_f64 v[72:73], v[145:146], v[72:73]
	v_add_f64 v[88:89], v[149:150], v[88:89]
	v_fma_f64 v[145:146], v[141:142], s[24:25], v[157:158]
	v_fma_f64 v[149:150], v[141:142], s[36:37], -v[161:162]
	v_mul_f64 v[157:158], v[112:113], s[48:49]
	s_mov_b32 s39, 0x3feec746
	s_mov_b32 s38, s20
	v_add_f64 v[82:83], v[70:71], v[82:83]
	v_fma_f64 v[94:95], v[131:132], s[18:19], -v[94:95]
	v_fma_f64 v[106:107], v[131:132], s[22:23], v[98:99]
	v_fma_f64 v[96:97], v[129:130], s[22:23], v[96:97]
	v_add_f64 v[102:103], v[70:71], v[102:103]
	v_add_f64 v[92:93], v[68:69], v[92:93]
	;; [unrolled: 1-line block ×3, first 2 shown]
	v_fma_f64 v[116:117], v[129:130], s[24:25], -v[108:109]
	v_fma_f64 v[108:109], v[129:130], s[24:25], v[108:109]
	v_add_f64 v[78:79], v[147:148], v[78:79]
	v_add_f64 v[90:91], v[151:152], v[90:91]
	v_fma_f64 v[147:148], v[137:138], s[24:25], -v[159:160]
	v_fma_f64 v[151:152], v[137:138], s[36:37], v[163:164]
	v_mul_f64 v[159:160], v[114:115], s[48:49]
	v_add_f64 v[80:81], v[145:146], v[80:81]
	v_add_f64 v[100:101], v[149:150], v[100:101]
	v_fma_f64 v[145:146], v[141:142], s[36:37], v[161:162]
	v_fma_f64 v[149:150], v[141:142], s[30:31], -v[157:158]
	v_mul_f64 v[161:162], v[112:113], s[38:39]
	s_mov_b32 s43, 0x3feca52d
	s_mov_b32 s42, s10
	;; [unrolled: 1-line block ×4, first 2 shown]
	v_fma_f64 v[98:99], v[131:132], s[22:23], -v[98:99]
	v_add_f64 v[94:95], v[70:71], v[94:95]
	v_add_f64 v[106:107], v[70:71], v[106:107]
	v_add_f64 v[96:97], v[68:69], v[96:97]
	v_fma_f64 v[118:119], v[131:132], s[24:25], v[110:111]
	v_fma_f64 v[110:111], v[131:132], s[24:25], -v[110:111]
	v_add_f64 v[108:109], v[68:69], v[108:109]
	v_add_f64 v[82:83], v[147:148], v[82:83]
	;; [unrolled: 1-line block ×3, first 2 shown]
	v_fma_f64 v[147:148], v[137:138], s[36:37], -v[163:164]
	v_fma_f64 v[151:152], v[137:138], s[30:31], v[159:160]
	v_mul_f64 v[163:164], v[114:115], s[38:39]
	v_add_f64 v[92:93], v[145:146], v[92:93]
	v_add_f64 v[104:105], v[149:150], v[104:105]
	v_fma_f64 v[145:146], v[141:142], s[30:31], v[157:158]
	v_fma_f64 v[149:150], v[141:142], s[22:23], -v[161:162]
	v_mul_f64 v[157:158], v[112:113], s[42:43]
	v_fma_f64 v[161:162], v[141:142], s[22:23], v[161:162]
	v_mul_f64 v[112:113], v[112:113], s[54:55]
	v_add_f64 v[98:99], v[70:71], v[98:99]
	v_add_f64 v[118:119], v[70:71], v[118:119]
	;; [unrolled: 1-line block ×4, first 2 shown]
	v_fma_f64 v[124:125], v[129:130], s[36:37], v[124:125]
	v_add_f64 v[94:95], v[147:148], v[94:95]
	v_add_f64 v[106:107], v[151:152], v[106:107]
	v_fma_f64 v[147:148], v[137:138], s[30:31], -v[159:160]
	v_fma_f64 v[151:152], v[137:138], s[22:23], v[163:164]
	v_mul_f64 v[159:160], v[114:115], s[42:43]
	v_fma_f64 v[163:164], v[137:138], s[22:23], -v[163:164]
	v_add_f64 v[96:97], v[145:146], v[96:97]
	v_fma_f64 v[145:146], v[141:142], s[14:15], -v[157:158]
	v_add_f64 v[108:109], v[161:162], v[108:109]
	v_mul_f64 v[114:115], v[114:115], s[54:55]
	v_add_f64 v[161:162], v[16:17], v[12:13]
	v_fma_f64 v[165:166], v[141:142], s[2:3], -v[112:113]
	v_add_f64 v[116:117], v[68:69], v[116:117]
	v_add_f64 v[122:123], v[70:71], v[122:123]
	v_fma_f64 v[126:127], v[131:132], s[36:37], -v[126:127]
	v_add_f64 v[124:125], v[68:69], v[124:125]
	v_add_f64 v[98:99], v[147:148], v[98:99]
	;; [unrolled: 1-line block ×3, first 2 shown]
	v_fma_f64 v[147:148], v[137:138], s[14:15], v[159:160]
	v_add_f64 v[110:111], v[163:164], v[110:111]
	v_add_f64 v[120:121], v[145:146], v[120:121]
	v_fma_f64 v[157:158], v[141:142], s[14:15], v[157:158]
	v_add_f64 v[163:164], v[12:13], -v[16:17]
	v_fma_f64 v[167:168], v[137:138], s[2:3], v[114:115]
	v_fma_f64 v[112:113], v[141:142], s[2:3], v[112:113]
	v_add_f64 v[151:152], v[14:15], -v[18:19]
	v_mul_f64 v[145:146], v[161:162], s[14:15]
	v_add_f64 v[165:166], v[165:166], v[153:154]
	v_mul_f64 v[153:154], v[161:162], s[24:25]
	s_mov_b32 s51, 0x3fe9895b
	s_mov_b32 s50, s26
	v_add_f64 v[126:127], v[70:71], v[126:127]
	v_add_f64 v[116:117], v[149:150], v[116:117]
	;; [unrolled: 1-line block ×3, first 2 shown]
	v_fma_f64 v[159:160], v[137:138], s[14:15], -v[159:160]
	v_fma_f64 v[114:115], v[137:138], s[2:3], -v[114:115]
	v_add_f64 v[149:150], v[18:19], v[14:15]
	v_mul_f64 v[147:148], v[163:164], s[10:11]
	v_add_f64 v[64:65], v[157:158], v[64:65]
	v_add_f64 v[167:168], v[167:168], v[155:156]
	v_add_f64 v[112:113], v[112:113], v[124:125]
	v_fma_f64 v[124:125], v[151:152], s[10:11], v[145:146]
	v_mul_f64 v[155:156], v[163:164], s[26:27]
	v_mul_f64 v[157:158], v[161:162], s[36:37]
	v_fma_f64 v[169:170], v[151:152], s[50:51], v[153:154]
	s_mov_b32 s57, 0x3fc7851a
	s_mov_b32 s56, s34
	v_add_f64 v[66:67], v[159:160], v[66:67]
	v_add_f64 v[114:115], v[114:115], v[126:127]
	v_fma_f64 v[126:127], v[149:150], s[14:15], -v[147:148]
	v_mul_f64 v[159:160], v[163:164], s[56:57]
	v_fma_f64 v[171:172], v[149:150], s[24:25], v[155:156]
	v_add_f64 v[74:75], v[124:125], v[74:75]
	v_fma_f64 v[124:125], v[151:152], s[26:27], v[153:154]
	v_fma_f64 v[153:154], v[151:152], s[34:35], v[157:158]
	v_add_f64 v[84:85], v[169:170], v[84:85]
	v_mul_f64 v[169:170], v[161:162], s[22:23]
	v_add_f64 v[76:77], v[126:127], v[76:77]
	v_fma_f64 v[126:127], v[149:150], s[24:25], -v[155:156]
	v_fma_f64 v[155:156], v[149:150], s[36:37], v[159:160]
	v_add_f64 v[86:87], v[171:172], v[86:87]
	v_mul_f64 v[171:172], v[163:164], s[38:39]
	v_add_f64 v[72:73], v[124:125], v[72:73]
	v_add_f64 v[88:89], v[153:154], v[88:89]
	v_fma_f64 v[124:125], v[151:152], s[56:57], v[157:158]
	v_fma_f64 v[153:154], v[151:152], s[20:21], v[169:170]
	v_mul_f64 v[157:158], v[161:162], s[4:5]
	s_mov_b32 s53, 0x3fe58eea
	s_mov_b32 s52, s40
	v_add_f64 v[78:79], v[126:127], v[78:79]
	v_add_f64 v[90:91], v[155:156], v[90:91]
	v_fma_f64 v[126:127], v[149:150], s[36:37], -v[159:160]
	v_fma_f64 v[155:156], v[149:150], s[22:23], v[171:172]
	v_mul_f64 v[159:160], v[163:164], s[52:53]
	v_add_f64 v[80:81], v[124:125], v[80:81]
	v_add_f64 v[100:101], v[153:154], v[100:101]
	v_fma_f64 v[124:125], v[151:152], s[38:39], v[169:170]
	v_fma_f64 v[153:154], v[151:152], s[40:41], v[157:158]
	v_mul_f64 v[169:170], v[161:162], s[2:3]
	v_add_f64 v[82:83], v[126:127], v[82:83]
	v_add_f64 v[102:103], v[155:156], v[102:103]
	v_fma_f64 v[126:127], v[149:150], s[22:23], -v[171:172]
	v_fma_f64 v[155:156], v[149:150], s[4:5], v[159:160]
	v_mul_f64 v[171:172], v[163:164], s[46:47]
	v_add_f64 v[92:93], v[124:125], v[92:93]
	v_add_f64 v[104:105], v[153:154], v[104:105]
	v_fma_f64 v[124:125], v[151:152], s[54:55], v[169:170]
	v_mul_f64 v[153:154], v[161:162], s[18:19]
	s_mov_b32 s45, 0x3fefdd0d
	s_mov_b32 s44, s16
	v_fma_f64 v[159:160], v[149:150], s[4:5], -v[159:160]
	v_add_f64 v[94:95], v[126:127], v[94:95]
	v_add_f64 v[106:107], v[155:156], v[106:107]
	v_fma_f64 v[126:127], v[149:150], s[2:3], v[171:172]
	v_mul_f64 v[155:156], v[163:164], s[16:17]
	v_add_f64 v[116:117], v[124:125], v[116:117]
	v_fma_f64 v[124:125], v[151:152], s[44:45], v[153:154]
	v_fma_f64 v[157:158], v[151:152], s[52:53], v[157:158]
	v_add_f64 v[98:99], v[159:160], v[98:99]
	v_fma_f64 v[159:160], v[149:150], s[2:3], -v[171:172]
	v_fma_f64 v[153:154], v[151:152], s[16:17], v[153:154]
	v_add_f64 v[118:119], v[126:127], v[118:119]
	v_fma_f64 v[126:127], v[149:150], s[18:19], v[155:156]
	v_mul_f64 v[161:162], v[161:162], s[30:31]
	v_add_f64 v[120:121], v[124:125], v[120:121]
	v_add_f64 v[124:125], v[40:41], v[20:21]
	;; [unrolled: 1-line block ×3, first 2 shown]
	v_fma_f64 v[157:158], v[151:152], s[46:47], v[169:170]
	v_add_f64 v[110:111], v[159:160], v[110:111]
	v_fma_f64 v[155:156], v[149:150], s[18:19], -v[155:156]
	v_mul_f64 v[163:164], v[163:164], s[28:29]
	v_add_f64 v[122:123], v[126:127], v[122:123]
	v_add_f64 v[126:127], v[20:21], -v[40:41]
	v_add_f64 v[64:65], v[153:154], v[64:65]
	v_fma_f64 v[169:170], v[151:152], s[48:49], v[161:162]
	v_add_f64 v[159:160], v[22:23], -v[42:43]
	v_mul_f64 v[153:154], v[124:125], s[18:19]
	v_add_f64 v[108:109], v[157:158], v[108:109]
	v_add_f64 v[66:67], v[155:156], v[66:67]
	v_fma_f64 v[171:172], v[149:150], s[30:31], v[163:164]
	v_add_f64 v[157:158], v[42:43], v[22:23]
	v_mul_f64 v[155:156], v[126:127], s[16:17]
	v_fma_f64 v[161:162], v[151:152], s[28:29], v[161:162]
	v_mul_f64 v[173:174], v[124:125], s[36:37]
	v_add_f64 v[169:170], v[169:170], v[165:166]
	v_fma_f64 v[165:166], v[159:160], s[16:17], v[153:154]
	v_fma_f64 v[163:164], v[149:150], s[30:31], -v[163:164]
	v_mul_f64 v[175:176], v[126:127], s[34:35]
	v_add_f64 v[171:172], v[171:172], v[167:168]
	v_fma_f64 v[167:168], v[157:158], s[18:19], -v[155:156]
	v_add_f64 v[112:113], v[161:162], v[112:113]
	v_fma_f64 v[161:162], v[159:160], s[56:57], v[173:174]
	v_mul_f64 v[177:178], v[124:125], s[22:23]
	v_add_f64 v[74:75], v[165:166], v[74:75]
	v_fma_f64 v[165:166], v[159:160], s[34:35], v[173:174]
	v_add_f64 v[114:115], v[163:164], v[114:115]
	v_fma_f64 v[163:164], v[157:158], s[36:37], v[175:176]
	v_mul_f64 v[179:180], v[126:127], s[38:39]
	v_add_f64 v[76:77], v[167:168], v[76:77]
	v_fma_f64 v[167:168], v[157:158], s[36:37], -v[175:176]
	v_add_f64 v[84:85], v[161:162], v[84:85]
	v_fma_f64 v[161:162], v[159:160], s[20:21], v[177:178]
	v_mul_f64 v[173:174], v[124:125], s[2:3]
	v_add_f64 v[72:73], v[165:166], v[72:73]
	v_fma_f64 v[165:166], v[159:160], s[38:39], v[177:178]
	v_add_f64 v[86:87], v[163:164], v[86:87]
	v_fma_f64 v[163:164], v[157:158], s[22:23], v[179:180]
	;; [unrolled: 10-line block ×3, first 2 shown]
	v_mul_f64 v[179:180], v[126:127], s[10:11]
	v_add_f64 v[82:83], v[167:168], v[82:83]
	v_fma_f64 v[167:168], v[157:158], s[2:3], -v[175:176]
	v_add_f64 v[100:101], v[161:162], v[100:101]
	v_fma_f64 v[161:162], v[159:160], s[42:43], v[177:178]
	v_mul_f64 v[173:174], v[124:125], s[30:31]
	v_add_f64 v[92:93], v[165:166], v[92:93]
	v_fma_f64 v[165:166], v[159:160], s[10:11], v[177:178]
	v_mul_f64 v[177:178], v[124:125], s[24:25]
	;; [unrolled: 3-line block ×3, first 2 shown]
	v_add_f64 v[94:95], v[167:168], v[94:95]
	v_fma_f64 v[167:168], v[157:158], s[14:15], -v[179:180]
	v_add_f64 v[104:105], v[161:162], v[104:105]
	v_fma_f64 v[161:162], v[159:160], s[48:49], v[173:174]
	v_mul_f64 v[179:180], v[126:127], s[50:51]
	v_add_f64 v[96:97], v[165:166], v[96:97]
	v_fma_f64 v[165:166], v[159:160], s[28:29], v[173:174]
	v_fma_f64 v[173:174], v[159:160], s[50:51], v[177:178]
	v_add_f64 v[106:107], v[163:164], v[106:107]
	v_fma_f64 v[163:164], v[157:158], s[30:31], v[175:176]
	v_add_f64 v[98:99], v[167:168], v[98:99]
	v_fma_f64 v[167:168], v[157:158], s[30:31], -v[175:176]
	v_add_f64 v[116:117], v[161:162], v[116:117]
	v_fma_f64 v[161:162], v[159:160], s[26:27], v[177:178]
	v_fma_f64 v[175:176], v[157:158], s[24:25], -v[179:180]
	v_mul_f64 v[124:125], v[124:125], s[4:5]
	v_add_f64 v[64:65], v[173:174], v[64:65]
	v_add_f64 v[173:174], v[60:61], v[24:25]
	;; [unrolled: 1-line block ×3, first 2 shown]
	v_fma_f64 v[163:164], v[157:158], s[24:25], v[179:180]
	v_add_f64 v[110:111], v[167:168], v[110:111]
	v_mul_f64 v[126:127], v[126:127], s[52:53]
	v_add_f64 v[120:121], v[161:162], v[120:121]
	v_add_f64 v[66:67], v[175:176], v[66:67]
	v_add_f64 v[175:176], v[24:25], -v[60:61]
	v_fma_f64 v[177:178], v[159:160], s[40:41], v[124:125]
	v_fma_f64 v[124:125], v[159:160], s[52:53], v[124:125]
	v_add_f64 v[167:168], v[26:27], -v[62:63]
	v_mul_f64 v[161:162], v[173:174], s[22:23]
	v_add_f64 v[108:109], v[165:166], v[108:109]
	v_add_f64 v[122:123], v[163:164], v[122:123]
	v_fma_f64 v[179:180], v[157:158], s[4:5], v[126:127]
	v_fma_f64 v[126:127], v[157:158], s[4:5], -v[126:127]
	v_add_f64 v[165:166], v[62:63], v[26:27]
	v_mul_f64 v[163:164], v[175:176], s[20:21]
	v_mul_f64 v[181:182], v[173:174], s[30:31]
	v_add_f64 v[112:113], v[124:125], v[112:113]
	v_fma_f64 v[124:125], v[167:168], s[20:21], v[161:162]
	v_mul_f64 v[185:186], v[173:174], s[4:5]
	v_mul_f64 v[183:184], v[175:176], s[48:49]
	v_add_f64 v[177:178], v[177:178], v[169:170]
	v_add_f64 v[114:115], v[126:127], v[114:115]
	v_fma_f64 v[126:127], v[165:166], s[22:23], -v[163:164]
	v_fma_f64 v[169:170], v[167:168], s[28:29], v[181:182]
	v_mul_f64 v[187:188], v[175:176], s[52:53]
	v_fma_f64 v[181:182], v[167:168], s[48:49], v[181:182]
	v_add_f64 v[74:75], v[124:125], v[74:75]
	v_fma_f64 v[124:125], v[167:168], s[40:41], v[185:186]
	v_add_f64 v[179:180], v[179:180], v[171:172]
	v_fma_f64 v[171:172], v[165:166], s[30:31], v[183:184]
	v_fma_f64 v[183:184], v[165:166], s[30:31], -v[183:184]
	v_add_f64 v[76:77], v[126:127], v[76:77]
	v_add_f64 v[84:85], v[169:170], v[84:85]
	v_fma_f64 v[126:127], v[165:166], s[4:5], v[187:188]
	v_add_f64 v[72:73], v[181:182], v[72:73]
	v_mul_f64 v[169:170], v[173:174], s[14:15]
	v_fma_f64 v[181:182], v[167:168], s[52:53], v[185:186]
	v_add_f64 v[88:89], v[124:125], v[88:89]
	v_mul_f64 v[124:125], v[173:174], s[36:37]
	v_add_f64 v[86:87], v[171:172], v[86:87]
	v_add_f64 v[78:79], v[183:184], v[78:79]
	v_mul_f64 v[171:172], v[175:176], s[10:11]
	v_fma_f64 v[183:184], v[165:166], s[4:5], -v[187:188]
	v_add_f64 v[90:91], v[126:127], v[90:91]
	v_mul_f64 v[126:127], v[175:176], s[34:35]
	v_fma_f64 v[185:186], v[167:168], s[42:43], v[169:170]
	v_add_f64 v[80:81], v[181:182], v[80:81]
	v_fma_f64 v[181:182], v[167:168], s[56:57], v[124:125]
	v_fma_f64 v[169:170], v[167:168], s[10:11], v[169:170]
	;; [unrolled: 1-line block ×3, first 2 shown]
	v_add_f64 v[82:83], v[183:184], v[82:83]
	v_fma_f64 v[124:125], v[167:168], s[34:35], v[124:125]
	v_fma_f64 v[183:184], v[165:166], s[36:37], v[126:127]
	v_add_f64 v[100:101], v[185:186], v[100:101]
	v_mul_f64 v[185:186], v[173:174], s[18:19]
	v_add_f64 v[104:105], v[181:182], v[104:105]
	v_mul_f64 v[181:182], v[173:174], s[2:3]
	v_fma_f64 v[171:172], v[165:166], s[14:15], -v[171:172]
	v_add_f64 v[102:103], v[187:188], v[102:103]
	v_mul_f64 v[187:188], v[175:176], s[44:45]
	v_add_f64 v[92:93], v[169:170], v[92:93]
	v_add_f64 v[106:107], v[183:184], v[106:107]
	v_fma_f64 v[126:127], v[165:166], s[36:37], -v[126:127]
	v_fma_f64 v[169:170], v[167:168], s[16:17], v[185:186]
	v_mul_f64 v[183:184], v[175:176], s[46:47]
	v_add_f64 v[96:97], v[124:125], v[96:97]
	v_fma_f64 v[124:125], v[167:168], s[54:55], v[181:182]
	v_add_f64 v[94:95], v[171:172], v[94:95]
	v_fma_f64 v[171:172], v[165:166], s[18:19], v[187:188]
	v_fma_f64 v[185:186], v[167:168], s[44:45], v[185:186]
	v_add_f64 v[98:99], v[126:127], v[98:99]
	v_add_f64 v[116:117], v[169:170], v[116:117]
	v_fma_f64 v[126:127], v[165:166], s[2:3], v[183:184]
	v_fma_f64 v[169:170], v[167:168], s[46:47], v[181:182]
	v_mul_f64 v[181:182], v[173:174], s[24:25]
	v_add_f64 v[120:121], v[124:125], v[120:121]
	v_add_f64 v[124:125], v[56:57], v[32:33]
	v_fma_f64 v[187:188], v[165:166], s[18:19], -v[187:188]
	v_add_f64 v[118:119], v[171:172], v[118:119]
	v_add_f64 v[108:109], v[185:186], v[108:109]
	v_fma_f64 v[171:172], v[165:166], s[2:3], -v[183:184]
	v_mul_f64 v[183:184], v[175:176], s[26:27]
	v_add_f64 v[122:123], v[126:127], v[122:123]
	v_add_f64 v[126:127], v[32:33], -v[56:57]
	v_add_f64 v[64:65], v[169:170], v[64:65]
	v_fma_f64 v[185:186], v[167:168], s[50:51], v[181:182]
	v_add_f64 v[175:176], v[34:35], -v[58:59]
	v_mul_f64 v[169:170], v[124:125], s[24:25]
	v_add_f64 v[110:111], v[187:188], v[110:111]
	v_add_f64 v[66:67], v[171:172], v[66:67]
	v_fma_f64 v[187:188], v[165:166], s[24:25], v[183:184]
	v_add_f64 v[173:174], v[58:59], v[34:35]
	v_mul_f64 v[171:172], v[126:127], s[26:27]
	v_fma_f64 v[181:182], v[167:168], s[26:27], v[181:182]
	v_fma_f64 v[183:184], v[165:166], s[24:25], -v[183:184]
	v_mul_f64 v[189:190], v[124:125], s[22:23]
	v_mul_f64 v[191:192], v[126:127], s[38:39]
	v_add_f64 v[185:186], v[185:186], v[177:178]
	v_fma_f64 v[177:178], v[175:176], s[26:27], v[169:170]
	v_add_f64 v[187:188], v[187:188], v[179:180]
	v_fma_f64 v[179:180], v[173:174], s[24:25], -v[171:172]
	v_add_f64 v[112:113], v[181:182], v[112:113]
	v_add_f64 v[114:115], v[183:184], v[114:115]
	v_fma_f64 v[181:182], v[175:176], s[20:21], v[189:190]
	v_fma_f64 v[183:184], v[173:174], s[22:23], v[191:192]
	v_mul_f64 v[193:194], v[124:125], s[2:3]
	v_mul_f64 v[195:196], v[126:127], s[46:47]
	v_add_f64 v[74:75], v[177:178], v[74:75]
	v_fma_f64 v[177:178], v[175:176], s[38:39], v[189:190]
	v_add_f64 v[76:77], v[179:180], v[76:77]
	v_fma_f64 v[179:180], v[173:174], s[22:23], -v[191:192]
	v_add_f64 v[84:85], v[181:182], v[84:85]
	v_add_f64 v[86:87], v[183:184], v[86:87]
	v_fma_f64 v[181:182], v[175:176], s[54:55], v[193:194]
	v_fma_f64 v[183:184], v[173:174], s[2:3], v[195:196]
	;; [unrolled: 10-line block ×5, first 2 shown]
	v_mul_f64 v[183:184], v[124:125], s[36:37]
	v_mul_f64 v[193:194], v[126:127], s[34:35]
	v_add_f64 v[195:196], v[72:73], v[96:97]
	v_fma_f64 v[72:73], v[175:176], s[40:41], v[189:190]
	v_fma_f64 v[96:97], v[173:174], s[4:5], -v[191:192]
	v_add_f64 v[199:200], v[177:178], v[98:99]
	v_add_f64 v[116:117], v[179:180], v[116:117]
	;; [unrolled: 1-line block ×3, first 2 shown]
	v_fma_f64 v[98:99], v[175:176], s[56:57], v[183:184]
	v_fma_f64 v[179:180], v[175:176], s[34:35], v[183:184]
	v_fma_f64 v[181:182], v[173:174], s[36:37], -v[193:194]
	v_add_f64 v[108:109], v[72:73], v[108:109]
	v_add_f64 v[110:111], v[96:97], v[110:111]
	v_mul_f64 v[72:73], v[124:125], s[14:15]
	v_mul_f64 v[96:97], v[126:127], s[42:43]
	v_add_f64 v[126:127], v[36:37], -v[52:53]
	v_fma_f64 v[177:178], v[173:174], s[36:37], v[193:194]
	v_add_f64 v[120:121], v[98:99], v[120:121]
	v_add_f64 v[64:65], v[179:180], v[64:65]
	;; [unrolled: 1-line block ×4, first 2 shown]
	v_fma_f64 v[98:99], v[175:176], s[10:11], v[72:73]
	v_fma_f64 v[189:190], v[173:174], s[14:15], v[96:97]
	;; [unrolled: 1-line block ×3, first 2 shown]
	v_fma_f64 v[96:97], v[173:174], s[14:15], -v[96:97]
	v_add_f64 v[181:182], v[54:55], v[38:39]
	v_mul_f64 v[179:180], v[126:127], s[28:29]
	v_add_f64 v[122:123], v[177:178], v[122:123]
	v_add_f64 v[183:184], v[38:39], -v[54:55]
	v_mul_f64 v[177:178], v[124:125], s[30:31]
	v_add_f64 v[193:194], v[98:99], v[185:186]
	v_mul_f64 v[98:99], v[124:125], s[14:15]
	v_mul_f64 v[185:186], v[126:127], s[42:43]
	v_add_f64 v[221:222], v[72:73], v[112:113]
	v_add_f64 v[223:224], v[96:97], v[114:115]
	v_fma_f64 v[96:97], v[181:182], s[30:31], -v[179:180]
	v_mul_f64 v[112:113], v[124:125], s[18:19]
	v_add_f64 v[219:220], v[189:190], v[187:188]
	v_fma_f64 v[72:73], v[183:184], s[28:29], v[177:178]
	v_mul_f64 v[114:115], v[126:127], s[16:17]
	v_fma_f64 v[187:188], v[183:184], s[10:11], v[98:99]
	v_fma_f64 v[189:190], v[181:182], s[14:15], v[185:186]
	;; [unrolled: 1-line block ×3, first 2 shown]
	v_add_f64 v[227:228], v[96:97], v[76:77]
	v_fma_f64 v[96:97], v[183:184], s[44:45], v[112:113]
	v_fma_f64 v[185:186], v[181:182], s[14:15], -v[185:186]
	v_add_f64 v[225:226], v[72:73], v[74:75]
	v_fma_f64 v[191:192], v[181:182], s[18:19], v[114:115]
	v_add_f64 v[72:73], v[187:188], v[84:85]
	v_add_f64 v[74:75], v[189:190], v[86:87]
	;; [unrolled: 1-line block ×3, first 2 shown]
	v_mul_f64 v[84:85], v[124:125], s[24:25]
	v_mul_f64 v[86:87], v[126:127], s[50:51]
	v_add_f64 v[88:89], v[96:97], v[88:89]
	v_fma_f64 v[96:97], v[183:184], s[16:17], v[112:113]
	v_fma_f64 v[98:99], v[181:182], s[18:19], -v[114:115]
	v_mul_f64 v[112:113], v[124:125], s[2:3]
	v_mul_f64 v[114:115], v[126:127], s[46:47]
	v_add_f64 v[78:79], v[185:186], v[78:79]
	v_add_f64 v[90:91], v[191:192], v[90:91]
	v_fma_f64 v[185:186], v[183:184], s[26:27], v[84:85]
	v_fma_f64 v[187:188], v[181:182], s[24:25], v[86:87]
	;; [unrolled: 1-line block ×3, first 2 shown]
	v_fma_f64 v[191:192], v[181:182], s[24:25], -v[86:87]
	v_add_f64 v[84:85], v[96:97], v[80:81]
	v_add_f64 v[86:87], v[98:99], v[82:83]
	v_fma_f64 v[80:81], v[183:184], s[54:55], v[112:113]
	v_fma_f64 v[82:83], v[181:182], s[2:3], v[114:115]
	v_add_f64 v[96:97], v[185:186], v[100:101]
	v_add_f64 v[98:99], v[187:188], v[102:103]
	v_mul_f64 v[185:186], v[124:125], s[36:37]
	v_mul_f64 v[187:188], v[126:127], s[34:35]
	v_add_f64 v[92:93], v[189:190], v[92:93]
	v_add_f64 v[94:95], v[191:192], v[94:95]
	;; [unrolled: 1-line block ×4, first 2 shown]
	v_fma_f64 v[80:81], v[183:184], s[46:47], v[112:113]
	v_fma_f64 v[82:83], v[181:182], s[2:3], -v[114:115]
	v_mul_f64 v[112:113], v[124:125], s[4:5]
	v_mul_f64 v[114:115], v[126:127], s[52:53]
	v_fma_f64 v[104:105], v[183:184], s[56:57], v[185:186]
	v_fma_f64 v[106:107], v[181:182], s[36:37], v[187:188]
	;; [unrolled: 1-line block ×3, first 2 shown]
	v_fma_f64 v[187:188], v[181:182], s[36:37], -v[187:188]
	v_add_f64 v[197:198], v[80:81], v[195:196]
	v_add_f64 v[199:200], v[82:83], v[199:200]
	v_fma_f64 v[80:81], v[183:184], s[40:41], v[112:113]
	v_fma_f64 v[82:83], v[181:182], s[4:5], v[114:115]
	v_add_f64 v[104:105], v[104:105], v[116:117]
	v_add_f64 v[106:107], v[106:107], v[118:119]
	v_fma_f64 v[116:117], v[183:184], s[52:53], v[112:113]
	v_fma_f64 v[118:119], v[181:182], s[4:5], -v[114:115]
	v_add_f64 v[108:109], v[185:186], v[108:109]
	v_add_f64 v[110:111], v[187:188], v[110:111]
	;; [unrolled: 1-line block ×5, first 2 shown]
	v_add_f64 v[120:121], v[44:45], -v[48:49]
	v_mul_f64 v[80:81], v[124:125], s[22:23]
	v_mul_f64 v[82:83], v[126:127], s[20:21]
	v_add_f64 v[116:117], v[116:117], v[64:65]
	v_add_f64 v[118:119], v[118:119], v[66:67]
	v_add_f64 v[189:190], v[50:51], v[46:47]
	v_add_f64 v[191:192], v[46:47], -v[50:51]
	v_mul_f64 v[185:186], v[122:123], s[36:37]
	v_mul_f64 v[187:188], v[120:121], s[34:35]
	v_fma_f64 v[64:65], v[183:184], s[38:39], v[80:81]
	v_fma_f64 v[66:67], v[181:182], s[22:23], v[82:83]
	;; [unrolled: 1-line block ×3, first 2 shown]
	v_fma_f64 v[82:83], v[181:182], s[22:23], -v[82:83]
	v_mul_f64 v[229:230], v[122:123], s[2:3]
	v_mul_f64 v[231:232], v[120:121], s[54:55]
	v_fma_f64 v[233:234], v[191:192], s[34:35], v[185:186]
	v_fma_f64 v[235:236], v[189:190], s[36:37], -v[187:188]
	v_add_f64 v[124:125], v[64:65], v[193:194]
	v_add_f64 v[193:194], v[66:67], v[219:220]
	;; [unrolled: 1-line block ×3, first 2 shown]
	v_mul_f64 v[219:220], v[122:123], s[30:31]
	v_mul_f64 v[221:222], v[120:121], s[28:29]
	v_add_f64 v[126:127], v[82:83], v[223:224]
	v_fma_f64 v[80:81], v[191:192], s[46:47], v[229:230]
	v_fma_f64 v[82:83], v[189:190], s[2:3], v[231:232]
	v_add_f64 v[64:65], v[233:234], v[225:226]
	v_add_f64 v[66:67], v[235:236], v[227:228]
	v_fma_f64 v[223:224], v[191:192], s[54:55], v[229:230]
	v_fma_f64 v[225:226], v[189:190], s[2:3], -v[231:232]
	v_mul_f64 v[227:228], v[122:123], s[4:5]
	v_mul_f64 v[229:230], v[120:121], s[52:53]
	v_fma_f64 v[231:232], v[191:192], s[48:49], v[219:220]
	v_fma_f64 v[233:234], v[189:190], s[30:31], v[221:222]
	v_add_f64 v[203:204], v[80:81], v[72:73]
	v_add_f64 v[205:206], v[82:83], v[74:75]
	;; [unrolled: 1-line block ×4, first 2 shown]
	v_fma_f64 v[219:220], v[191:192], s[28:29], v[219:220]
	v_fma_f64 v[221:222], v[189:190], s[30:31], -v[221:222]
	v_fma_f64 v[223:224], v[191:192], s[40:41], v[227:228]
	v_fma_f64 v[225:226], v[189:190], s[4:5], v[229:230]
	v_add_f64 v[76:77], v[231:232], v[88:89]
	v_add_f64 v[78:79], v[233:234], v[90:91]
	v_mul_f64 v[231:232], v[122:123], s[24:25]
	v_mul_f64 v[233:234], v[120:121], s[26:27]
	v_add_f64 v[88:89], v[219:220], v[84:85]
	v_add_f64 v[90:91], v[221:222], v[86:87]
	;; [unrolled: 1-line block ×4, first 2 shown]
	v_fma_f64 v[96:97], v[191:192], s[52:53], v[227:228]
	v_fma_f64 v[98:99], v[189:190], s[4:5], -v[229:230]
	v_fma_f64 v[219:220], v[191:192], s[50:51], v[231:232]
	v_fma_f64 v[221:222], v[189:190], s[24:25], v[233:234]
	v_mul_f64 v[223:224], v[122:123], s[14:15]
	v_mul_f64 v[225:226], v[120:121], s[42:43]
	v_fma_f64 v[227:228], v[191:192], s[26:27], v[231:232]
	v_fma_f64 v[229:230], v[189:190], s[24:25], -v[233:234]
	v_add_f64 v[72:73], v[96:97], v[92:93]
	v_add_f64 v[74:75], v[98:99], v[94:95]
	;; [unrolled: 1-line block ×4, first 2 shown]
	v_fma_f64 v[219:220], v[191:192], s[10:11], v[223:224]
	v_fma_f64 v[221:222], v[189:190], s[14:15], v[225:226]
	v_add_f64 v[100:101], v[227:228], v[197:198]
	v_add_f64 v[102:103], v[229:230], v[199:200]
	v_fma_f64 v[197:198], v[191:192], s[42:43], v[223:224]
	v_fma_f64 v[199:200], v[189:190], s[14:15], -v[225:226]
	v_mul_f64 v[223:224], v[122:123], s[22:23]
	v_mul_f64 v[225:226], v[120:121], s[20:21]
	;; [unrolled: 1-line block ×4, first 2 shown]
	v_add_f64 v[96:97], v[219:220], v[104:105]
	v_add_f64 v[98:99], v[221:222], v[106:107]
	;; [unrolled: 1-line block ×4, first 2 shown]
	v_fma_f64 v[197:198], v[191:192], s[38:39], v[223:224]
	v_fma_f64 v[199:200], v[189:190], s[22:23], v[225:226]
	;; [unrolled: 1-line block ×3, first 2 shown]
	v_fma_f64 v[221:222], v[189:190], s[22:23], -v[225:226]
	v_fma_f64 v[223:224], v[191:192], s[16:17], v[122:123]
	v_fma_f64 v[225:226], v[189:190], s[18:19], v[120:121]
	;; [unrolled: 1-line block ×3, first 2 shown]
	v_fma_f64 v[229:230], v[189:190], s[18:19], -v[120:121]
	v_add_f64 v[108:109], v[197:198], v[112:113]
	v_add_f64 v[110:111], v[199:200], v[114:115]
	;; [unrolled: 1-line block ×8, first 2 shown]
	v_mul_lo_u16_e32 v193, 17, v255
	s_barrier
	s_and_saveexec_b64 s[38:39], vcc
	s_cbranch_execz .LBB0_7
; %bb.6:
	v_add_f64 v[6:7], v[6:7], v[70:71]
	v_add_f64 v[4:5], v[4:5], v[68:69]
	v_add_f64 v[2:3], v[2:3], v[6:7]
	v_add_f64 v[0:1], v[0:1], v[4:5]
	v_mul_f64 v[4:5], v[129:130], s[2:3]
	v_mul_f64 v[6:7], v[131:132], s[2:3]
	v_add_f64 v[2:3], v[14:15], v[2:3]
	v_add_f64 v[0:1], v[12:13], v[0:1]
	v_mul_f64 v[12:13], v[141:142], s[4:5]
	v_mul_f64 v[14:15], v[137:138], s[4:5]
	v_add_f64 v[6:7], v[135:136], v[6:7]
	v_add_f64 v[4:5], v[4:5], -v[133:134]
	v_add_f64 v[2:3], v[22:23], v[2:3]
	v_add_f64 v[0:1], v[20:21], v[0:1]
	v_mul_f64 v[20:21], v[151:152], s[10:11]
	v_mul_f64 v[22:23], v[149:150], s[14:15]
	v_add_f64 v[14:15], v[143:144], v[14:15]
	v_add_f64 v[12:13], v[12:13], -v[139:140]
	v_add_f64 v[6:7], v[70:71], v[6:7]
	v_add_f64 v[4:5], v[68:69], v[4:5]
	v_add_f64 v[2:3], v[26:27], v[2:3]
	v_add_f64 v[0:1], v[24:25], v[0:1]
	v_mul_f64 v[24:25], v[159:160], s[16:17]
	v_mul_f64 v[26:27], v[157:158], s[18:19]
	v_add_f64 v[22:23], v[22:23], v[147:148]
	v_add_f64 v[20:21], v[145:146], -v[20:21]
	v_add_f64 v[6:7], v[14:15], v[6:7]
	v_add_f64 v[4:5], v[12:13], v[4:5]
	v_add_f64 v[2:3], v[34:35], v[2:3]
	v_add_f64 v[0:1], v[32:33], v[0:1]
	v_mul_f64 v[32:33], v[167:168], s[20:21]
	v_mul_f64 v[34:35], v[165:166], s[22:23]
	v_add_f64 v[26:27], v[26:27], v[155:156]
	v_add_f64 v[24:25], v[153:154], -v[24:25]
	v_add_f64 v[6:7], v[22:23], v[6:7]
	v_add_f64 v[4:5], v[20:21], v[4:5]
	v_add_f64 v[2:3], v[38:39], v[2:3]
	v_add_f64 v[0:1], v[36:37], v[0:1]
	v_mul_f64 v[36:37], v[175:176], s[26:27]
	v_mul_f64 v[12:13], v[173:174], s[24:25]
	v_add_f64 v[34:35], v[34:35], v[163:164]
	v_add_f64 v[32:33], v[161:162], -v[32:33]
	v_add_f64 v[6:7], v[26:27], v[6:7]
	v_add_f64 v[4:5], v[24:25], v[4:5]
	v_add_f64 v[2:3], v[46:47], v[2:3]
	v_add_f64 v[0:1], v[44:45], v[0:1]
	v_mul_f64 v[14:15], v[183:184], s[28:29]
	v_mul_f64 v[20:21], v[181:182], s[30:31]
	v_add_f64 v[12:13], v[12:13], v[171:172]
	v_add_f64 v[26:27], v[169:170], -v[36:37]
	v_add_f64 v[6:7], v[34:35], v[6:7]
	v_add_f64 v[4:5], v[32:33], v[4:5]
	v_add_f64 v[2:3], v[50:51], v[2:3]
	v_add_f64 v[0:1], v[48:49], v[0:1]
	v_mul_f64 v[22:23], v[191:192], s[34:35]
	v_mul_f64 v[24:25], v[189:190], s[36:37]
	v_add_f64 v[20:21], v[20:21], v[179:180]
	v_add_f64 v[14:15], v[177:178], -v[14:15]
	v_add_f64 v[6:7], v[12:13], v[6:7]
	v_add_f64 v[4:5], v[26:27], v[4:5]
	v_add_f64 v[2:3], v[54:55], v[2:3]
	v_add_f64 v[0:1], v[52:53], v[0:1]
	v_add_lshl_u32 v38, v202, v193, 4
	v_add_f64 v[12:13], v[24:25], v[187:188]
	ds_write_b128 v38, v[203:206] offset:32
	ds_write_b128 v38, v[76:79] offset:48
	;; [unrolled: 1-line block ×4, first 2 shown]
	v_add_f64 v[6:7], v[20:21], v[6:7]
	v_add_f64 v[4:5], v[14:15], v[4:5]
	;; [unrolled: 1-line block ×4, first 2 shown]
	ds_write_b128 v38, v[96:99] offset:96
	ds_write_b128 v38, v[108:111] offset:112
	ds_write_b128 v38, v[116:119] offset:128
	ds_write_b128 v38, v[112:115] offset:144
	v_add_f64 v[2:3], v[62:63], v[2:3]
	v_add_f64 v[0:1], v[60:61], v[0:1]
	;; [unrolled: 1-line block ×6, first 2 shown]
	v_add_f64 v[16:17], v[185:186], -v[22:23]
	v_add_f64 v[14:15], v[30:31], v[2:3]
	v_add_f64 v[18:19], v[28:29], v[0:1]
	;; [unrolled: 1-line block ×6, first 2 shown]
	ds_write_b128 v38, v[120:123] offset:160
	ds_write_b128 v38, v[104:107] offset:176
	;; [unrolled: 1-line block ×7, first 2 shown]
	ds_write_b128 v38, v[4:7]
	ds_write_b128 v38, v[64:67] offset:256
.LBB0_7:
	s_or_b64 exec, exec, s[38:39]
	s_load_dwordx4 s[0:3], s[0:1], 0x0
	s_waitcnt lgkmcnt(0)
	s_barrier
	global_load_dwordx4 v[0:3], v215, s[8:9]
	v_add_lshl_u32 v173, v202, v255, 4
	ds_read_b128 v[4:7], v173 offset:272
	v_lshl_add_u32 v174, v255, 4, v251
	s_waitcnt vmcnt(0) lgkmcnt(0)
	v_mul_f64 v[8:9], v[6:7], v[2:3]
	v_mul_f64 v[10:11], v[4:5], v[2:3]
	v_fma_f64 v[8:9], v[4:5], v[0:1], -v[8:9]
	buffer_store_dword v0, off, s[60:63], 0 ; 4-byte Folded Spill
	s_nop 0
	buffer_store_dword v1, off, s[60:63], 0 offset:4 ; 4-byte Folded Spill
	buffer_store_dword v2, off, s[60:63], 0 offset:8 ; 4-byte Folded Spill
	;; [unrolled: 1-line block ×3, first 2 shown]
	v_fma_f64 v[10:11], v[6:7], v[0:1], v[10:11]
	ds_read_b128 v[4:7], v173
	s_waitcnt lgkmcnt(0)
	v_add_f64 v[8:9], v[4:5], -v[8:9]
	v_add_f64 v[10:11], v[6:7], -v[10:11]
	v_fma_f64 v[4:5], v[4:5], 2.0, -v[8:9]
	v_fma_f64 v[6:7], v[6:7], 2.0, -v[10:11]
	ds_write_b128 v174, v[8:11] offset:272
	ds_write_b128 v174, v[4:7]
	s_waitcnt vmcnt(0) lgkmcnt(0)
	s_barrier
	s_and_saveexec_b64 s[4:5], vcc
	s_cbranch_execz .LBB0_9
; %bb.8:
	global_load_dwordx4 v[16:19], v215, s[6:7] offset:544
	s_add_u32 s8, s6, 0x220
	s_addc_u32 s9, s7, 0
	global_load_dwordx4 v[12:15], v215, s[8:9] offset:32
	global_load_dwordx4 v[20:23], v215, s[8:9] offset:64
	;; [unrolled: 1-line block ×16, first 2 shown]
	ds_read_b128 v[141:144], v216
	v_mov_b32_e32 v127, v99
	v_mov_b32_e32 v126, v98
	;; [unrolled: 1-line block ×59, first 2 shown]
	s_waitcnt vmcnt(16) lgkmcnt(0)
	v_mul_f64 v[145:146], v[143:144], v[18:19]
	v_mul_f64 v[18:19], v[141:142], v[18:19]
	v_fma_f64 v[141:142], v[141:142], v[16:17], -v[145:146]
	v_fma_f64 v[143:144], v[143:144], v[16:17], v[18:19]
	ds_write_b128 v216, v[141:144]
	ds_read_b128 v[16:19], v174 offset:32
	ds_read_b128 v[141:144], v174 offset:64
	;; [unrolled: 1-line block ×16, first 2 shown]
	s_waitcnt vmcnt(15) lgkmcnt(14)
	v_mul_f64 v[191:192], v[18:19], v[14:15]
	v_mul_f64 v[198:199], v[16:17], v[14:15]
	s_waitcnt vmcnt(14)
	v_mul_f64 v[227:228], v[143:144], v[22:23]
	s_waitcnt vmcnt(3) lgkmcnt(3)
	v_mul_f64 v[64:65], v[189:190], v[70:71]
	v_mul_f64 v[70:71], v[187:188], v[70:71]
	s_waitcnt vmcnt(2) lgkmcnt(2)
	v_mul_f64 v[251:252], v[196:197], v[131:132]
	;; [unrolled: 3-line block ×4, first 2 shown]
	v_mul_f64 v[205:206], v[223:224], v[139:140]
	v_mul_f64 v[22:23], v[141:142], v[22:23]
	;; [unrolled: 1-line block ×22, first 2 shown]
	v_fma_f64 v[14:15], v[16:17], v[12:13], -v[191:192]
	v_fma_f64 v[16:17], v[18:19], v[12:13], v[198:199]
	v_fma_f64 v[18:19], v[141:142], v[20:21], -v[227:228]
	v_fma_f64 v[139:140], v[187:188], v[68:69], -v[64:65]
	v_fma_f64 v[141:142], v[189:190], v[68:69], v[70:71]
	v_fma_f64 v[68:69], v[194:195], v[129:130], -v[251:252]
	v_fma_f64 v[70:71], v[196:197], v[129:130], v[131:132]
	;; [unrolled: 2-line block ×4, first 2 shown]
	v_mov_b32_e32 v206, v79
	v_fma_f64 v[20:21], v[143:144], v[20:21], v[22:23]
	v_mov_b32_e32 v205, v78
	v_mov_b32_e32 v204, v77
	;; [unrolled: 1-line block ×4, first 2 shown]
	v_fma_f64 v[22:23], v[145:146], v[24:25], -v[229:230]
	v_fma_f64 v[24:25], v[147:148], v[24:25], v[26:27]
	v_mov_b32_e32 v251, v66
	v_mov_b32_e32 v64, v72
	v_mov_b32_e32 v77, v81
	v_mov_b32_e32 v78, v82
	v_mov_b32_e32 v79, v83
	v_mov_b32_e32 v80, v84
	v_fma_f64 v[26:27], v[149:150], v[28:29], -v[231:232]
	v_fma_f64 v[28:29], v[151:152], v[28:29], v[30:31]
	v_mov_b32_e32 v65, v73
	v_mov_b32_e32 v66, v74
	v_mov_b32_e32 v67, v75
	v_mov_b32_e32 v72, v100
	v_mov_b32_e32 v81, v85
	v_mov_b32_e32 v82, v86
	v_mov_b32_e32 v83, v87
	v_mov_b32_e32 v84, v88
	v_fma_f64 v[30:31], v[153:154], v[32:33], -v[233:234]
	v_fma_f64 v[32:33], v[155:156], v[32:33], v[34:35]
	v_mov_b32_e32 v73, v101
	v_mov_b32_e32 v74, v102
	;; [unrolled: 10-line block ×5, first 2 shown]
	v_mov_b32_e32 v112, v0
	v_mov_b32_e32 v97, v125
	;; [unrolled: 1-line block ×4, first 2 shown]
	v_fma_f64 v[46:47], v[169:170], v[48:49], -v[241:242]
	v_fma_f64 v[48:49], v[171:172], v[48:49], v[50:51]
	v_fma_f64 v[50:51], v[175:176], v[52:53], -v[243:244]
	v_fma_f64 v[52:53], v[177:178], v[52:53], v[54:55]
	;; [unrolled: 2-line block ×4, first 2 shown]
	ds_write_b128 v174, v[14:17] offset:32
	ds_write_b128 v174, v[18:21] offset:64
	;; [unrolled: 1-line block ×16, first 2 shown]
.LBB0_9:
	s_or_b64 exec, exec, s[4:5]
	s_waitcnt lgkmcnt(0)
	s_barrier
	s_and_saveexec_b64 s[4:5], vcc
	s_cbranch_execz .LBB0_11
; %bb.10:
	ds_read_b128 v[4:7], v216
	ds_read_b128 v[8:11], v174 offset:32
	ds_read_b128 v[203:206], v174 offset:64
	;; [unrolled: 1-line block ×16, first 2 shown]
.LBB0_11:
	s_or_b64 exec, exec, s[4:5]
	s_waitcnt lgkmcnt(0)
	s_barrier
	s_and_saveexec_b64 s[4:5], vcc
	s_cbranch_execz .LBB0_13
; %bb.12:
	v_add_f64 v[171:172], v[8:9], -v[64:65]
	s_mov_b32 s8, 0xacd6c6b4
	s_mov_b32 s9, 0xbfc7851a
	v_add_f64 v[169:170], v[203:204], -v[80:81]
	v_add_f64 v[68:69], v[10:11], v[66:67]
	v_add_f64 v[155:156], v[10:11], -v[66:67]
	s_mov_b32 s36, 0x5d8e7cdc
	s_mov_b32 s10, 0x7faef3
	v_mul_f64 v[12:13], v[171:172], s[8:9]
	s_mov_b32 s37, 0x3fd71e95
	s_mov_b32 s11, 0xbfef7484
	v_add_f64 v[137:138], v[76:77], -v[88:89]
	v_mul_f64 v[14:15], v[169:170], s[36:37]
	v_add_f64 v[60:61], v[205:206], v[82:83]
	v_add_f64 v[157:158], v[205:206], -v[82:83]
	v_add_f64 v[153:154], v[8:9], v[64:65]
	v_fma_f64 v[16:17], v[68:69], s[10:11], v[12:13]
	v_mul_f64 v[34:35], v[155:156], s[8:9]
	s_mov_b32 s14, 0x4363dd80
	s_mov_b32 s26, 0x370991
	;; [unrolled: 1-line block ×4, first 2 shown]
	v_add_f64 v[133:134], v[84:85], -v[72:73]
	v_mul_f64 v[18:19], v[137:138], s[14:15]
	v_add_f64 v[62:63], v[90:91], v[78:79]
	v_fma_f64 v[20:21], v[60:61], s[26:27], v[14:15]
	v_add_f64 v[16:17], v[6:7], v[16:17]
	v_add_f64 v[163:164], v[88:89], v[76:77]
	;; [unrolled: 1-line block ×3, first 2 shown]
	v_mul_f64 v[40:41], v[157:158], s[36:37]
	v_fma_f64 v[42:43], v[153:154], s[10:11], -v[34:35]
	s_mov_b32 s54, 0x2a9d6da3
	s_mov_b32 s16, 0x910ea3b9
	s_mov_b32 s55, 0x3fe58eea
	s_mov_b32 s17, 0xbfeb34fa
	v_add_f64 v[131:132], v[92:93], -v[100:101]
	v_mul_f64 v[22:23], v[133:134], s[54:55]
	v_add_f64 v[58:59], v[74:75], v[86:87]
	v_fma_f64 v[24:25], v[62:63], s[16:17], v[18:19]
	v_add_f64 v[16:17], v[20:21], v[16:17]
	v_add_f64 v[167:168], v[72:73], v[84:85]
	v_mul_f64 v[46:47], v[163:164], s[16:17]
	v_add_f64 v[149:150], v[78:79], -v[90:91]
	v_fma_f64 v[175:176], v[151:152], s[26:27], -v[40:41]
	v_add_f64 v[42:43], v[4:5], v[42:43]
	s_mov_b32 s18, 0x6c9a05f6
	s_mov_b32 s34, 0x75d4884
	;; [unrolled: 1-line block ×6, first 2 shown]
	v_add_f64 v[129:130], v[96:97], -v[104:105]
	v_mul_f64 v[20:21], v[131:132], s[18:19]
	v_add_f64 v[56:57], v[102:103], v[94:95]
	v_fma_f64 v[26:27], v[58:59], s[34:35], v[22:23]
	v_add_f64 v[16:17], v[24:25], v[16:17]
	v_add_f64 v[165:166], v[100:101], v[92:93]
	v_mul_f64 v[177:178], v[167:168], s[34:35]
	v_add_f64 v[147:148], v[86:87], -v[74:75]
	v_fma_f64 v[12:13], v[68:69], s[10:11], -v[12:13]
	v_fma_f64 v[179:180], v[149:150], s[42:43], v[46:47]
	v_fma_f64 v[34:35], v[153:154], s[10:11], v[34:35]
	v_add_f64 v[42:43], v[175:176], v[42:43]
	s_mov_b32 s24, 0x7c9e640b
	s_mov_b32 s20, 0x6ed5f1bb
	;; [unrolled: 1-line block ×6, first 2 shown]
	v_add_f64 v[70:71], v[108:109], -v[120:121]
	v_mul_f64 v[24:25], v[129:130], s[24:25]
	v_add_f64 v[54:55], v[106:107], v[98:99]
	v_fma_f64 v[28:29], v[56:57], s[20:21], v[20:21]
	v_add_f64 v[16:17], v[26:27], v[16:17]
	v_add_f64 v[159:160], v[104:105], v[96:97]
	v_mul_f64 v[44:45], v[165:166], s[20:21]
	v_add_f64 v[145:146], v[94:95], -v[102:103]
	v_fma_f64 v[175:176], v[147:148], s[52:53], v[177:178]
	v_fma_f64 v[14:15], v[60:61], s[26:27], -v[14:15]
	v_add_f64 v[12:13], v[6:7], v[12:13]
	v_fma_f64 v[40:41], v[151:152], s[26:27], v[40:41]
	v_add_f64 v[34:35], v[4:5], v[34:35]
	v_add_f64 v[42:43], v[179:180], v[42:43]
	s_mov_b32 s22, 0x923c349f
	s_mov_b32 s38, 0x2b2883cd
	;; [unrolled: 1-line block ×6, first 2 shown]
	v_add_f64 v[48:49], v[116:117], -v[112:113]
	v_mul_f64 v[26:27], v[70:71], s[22:23]
	v_add_f64 v[52:53], v[122:123], v[110:111]
	v_fma_f64 v[30:31], v[54:55], s[38:39], v[24:25]
	v_add_f64 v[16:17], v[28:29], v[16:17]
	v_add_f64 v[161:162], v[120:121], v[108:109]
	v_mul_f64 v[38:39], v[159:160], s[38:39]
	v_add_f64 v[143:144], v[98:99], -v[106:107]
	v_fma_f64 v[179:180], v[145:146], s[46:47], v[44:45]
	v_fma_f64 v[18:19], v[62:63], s[16:17], -v[18:19]
	v_add_f64 v[12:13], v[14:15], v[12:13]
	v_fma_f64 v[14:15], v[149:150], s[14:15], v[46:47]
	v_add_f64 v[34:35], v[40:41], v[34:35]
	v_add_f64 v[40:41], v[175:176], v[42:43]
	s_mov_b32 s28, 0xeb564b22
	s_mov_b32 s30, 0xc61f0d01
	s_mov_b32 s29, 0x3fefdd0d
	s_mov_b32 s31, 0xbfd183b1
	s_mov_b32 s51, 0xbfeca52d
	s_mov_b32 s50, s24
	v_mul_f64 v[28:29], v[48:49], s[28:29]
	v_add_f64 v[50:51], v[114:115], v[118:119]
	v_fma_f64 v[32:33], v[52:53], s[30:31], v[26:27]
	v_add_f64 v[16:17], v[30:31], v[16:17]
	v_add_f64 v[141:142], v[112:113], v[116:117]
	v_mul_f64 v[36:37], v[161:162], s[30:31]
	v_add_f64 v[139:140], v[110:111], -v[122:123]
	v_fma_f64 v[42:43], v[143:144], s[50:51], v[38:39]
	v_fma_f64 v[22:23], v[58:59], s[34:35], -v[22:23]
	v_add_f64 v[12:13], v[18:19], v[12:13]
	v_fma_f64 v[18:19], v[147:148], s[54:55], v[177:178]
	v_add_f64 v[14:15], v[14:15], v[34:35]
	v_add_f64 v[34:35], v[179:180], v[40:41]
	s_mov_b32 s40, 0x3259b75e
	s_mov_b32 s41, 0x3fb79ee6
	;; [unrolled: 1-line block ×4, first 2 shown]
	v_fma_f64 v[30:31], v[50:51], s[40:41], v[28:29]
	v_add_f64 v[16:17], v[32:33], v[16:17]
	v_mul_f64 v[32:33], v[141:142], s[40:41]
	v_add_f64 v[135:136], v[118:119], -v[114:115]
	v_fma_f64 v[40:41], v[139:140], s[48:49], v[36:37]
	v_fma_f64 v[20:21], v[56:57], s[20:21], -v[20:21]
	v_add_f64 v[12:13], v[22:23], v[12:13]
	v_fma_f64 v[22:23], v[145:146], s[18:19], v[44:45]
	v_add_f64 v[14:15], v[18:19], v[14:15]
	v_add_f64 v[18:19], v[42:43], v[34:35]
	v_mul_f64 v[42:43], v[171:172], s[14:15]
	s_mov_b32 s45, 0xbfefdd0d
	s_mov_b32 s44, s28
	v_fma_f64 v[34:35], v[135:136], s[44:45], v[32:33]
	v_fma_f64 v[24:25], v[54:55], s[38:39], -v[24:25]
	v_add_f64 v[12:13], v[20:21], v[12:13]
	v_fma_f64 v[20:21], v[143:144], s[24:25], v[38:39]
	v_add_f64 v[22:23], v[22:23], v[14:15]
	v_add_f64 v[18:19], v[40:41], v[18:19]
	;; [unrolled: 1-line block ×3, first 2 shown]
	v_fma_f64 v[16:17], v[52:53], s[30:31], -v[26:27]
	v_mul_f64 v[26:27], v[169:170], s[24:25]
	v_fma_f64 v[30:31], v[68:69], s[16:17], v[42:43]
	v_add_f64 v[24:25], v[24:25], v[12:13]
	v_fma_f64 v[36:37], v[139:140], s[22:23], v[36:37]
	v_add_f64 v[20:21], v[20:21], v[22:23]
	v_add_f64 v[12:13], v[34:35], v[18:19]
	v_fma_f64 v[18:19], v[50:51], s[40:41], -v[28:29]
	v_mul_f64 v[22:23], v[137:138], s[44:45]
	v_fma_f64 v[28:29], v[60:61], s[38:39], v[26:27]
	v_add_f64 v[30:31], v[6:7], v[30:31]
	v_mul_f64 v[34:35], v[155:156], s[14:15]
	v_mul_f64 v[40:41], v[157:158], s[24:25]
	v_add_f64 v[20:21], v[36:37], v[20:21]
	v_mul_f64 v[36:37], v[133:134], s[46:47]
	s_mov_b32 s57, 0xbfd71e95
	v_fma_f64 v[38:39], v[62:63], s[40:41], v[22:23]
	s_mov_b32 s56, s36
	v_add_f64 v[28:29], v[28:29], v[30:31]
	v_fma_f64 v[44:45], v[153:154], s[16:17], -v[34:35]
	v_mul_f64 v[46:47], v[131:132], s[56:57]
	v_mul_f64 v[179:180], v[163:164], s[40:41]
	v_fma_f64 v[175:176], v[58:59], s[20:21], v[36:37]
	v_fma_f64 v[181:182], v[151:152], s[38:39], -v[40:41]
	v_fma_f64 v[42:43], v[68:69], s[16:17], -v[42:43]
	v_fma_f64 v[34:35], v[153:154], s[16:17], v[34:35]
	v_add_f64 v[28:29], v[38:39], v[28:29]
	v_add_f64 v[44:45], v[4:5], v[44:45]
	v_fma_f64 v[183:184], v[56:57], s[26:27], v[46:47]
	v_mul_f64 v[185:186], v[167:168], s[20:21]
	v_fma_f64 v[187:188], v[149:150], s[28:29], v[179:180]
	v_fma_f64 v[26:27], v[60:61], s[38:39], -v[26:27]
	v_add_f64 v[42:43], v[6:7], v[42:43]
	v_fma_f64 v[40:41], v[151:152], s[38:39], v[40:41]
	v_add_f64 v[28:29], v[175:176], v[28:29]
	v_add_f64 v[44:45], v[181:182], v[44:45]
	;; [unrolled: 1-line block ×3, first 2 shown]
	v_mul_f64 v[181:182], v[165:166], s[26:27]
	v_mul_f64 v[38:39], v[129:130], s[8:9]
	v_fma_f64 v[22:23], v[62:63], s[40:41], -v[22:23]
	v_add_f64 v[26:27], v[26:27], v[42:43]
	v_fma_f64 v[179:180], v[149:150], s[44:45], v[179:180]
	v_add_f64 v[28:29], v[183:184], v[28:29]
	v_fma_f64 v[183:184], v[147:148], s[18:19], v[185:186]
	v_add_f64 v[44:45], v[187:188], v[44:45]
	v_add_f64 v[34:35], v[40:41], v[34:35]
	v_mul_f64 v[40:41], v[159:160], s[10:11]
	v_fma_f64 v[187:188], v[145:146], s[36:37], v[181:182]
	s_mov_b32 s59, 0x3fc7851a
	s_mov_b32 s58, s8
	v_fma_f64 v[175:176], v[54:55], s[10:11], v[38:39]
	v_mul_f64 v[42:43], v[161:162], s[34:35]
	v_add_f64 v[44:45], v[183:184], v[44:45]
	v_fma_f64 v[36:37], v[58:59], s[20:21], -v[36:37]
	v_add_f64 v[22:23], v[22:23], v[26:27]
	v_fma_f64 v[26:27], v[147:148], s[46:47], v[185:186]
	v_add_f64 v[34:35], v[179:180], v[34:35]
	v_fma_f64 v[179:180], v[143:144], s[58:59], v[40:41]
	v_mul_f64 v[30:31], v[70:71], s[54:55]
	v_fma_f64 v[46:47], v[56:57], s[26:27], -v[46:47]
	v_add_f64 v[44:45], v[187:188], v[44:45]
	v_add_f64 v[28:29], v[175:176], v[28:29]
	;; [unrolled: 1-line block ×3, first 2 shown]
	v_fma_f64 v[36:37], v[145:146], s[56:57], v[181:182]
	v_add_f64 v[26:27], v[26:27], v[34:35]
	v_mul_f64 v[34:35], v[141:142], s[30:31]
	v_fma_f64 v[175:176], v[139:140], s[52:53], v[42:43]
	v_add_f64 v[16:17], v[16:17], v[24:25]
	v_add_f64 v[44:45], v[179:180], v[44:45]
	v_fma_f64 v[24:25], v[135:136], s[28:29], v[32:33]
	v_mul_f64 v[32:33], v[48:49], s[22:23]
	v_fma_f64 v[177:178], v[52:53], s[34:35], v[30:31]
	v_fma_f64 v[38:39], v[54:55], s[10:11], -v[38:39]
	v_add_f64 v[22:23], v[46:47], v[22:23]
	v_add_f64 v[26:27], v[36:37], v[26:27]
	v_fma_f64 v[36:37], v[135:136], s[48:49], v[34:35]
	v_add_f64 v[44:45], v[175:176], v[44:45]
	v_fma_f64 v[40:41], v[143:144], s[8:9], v[40:41]
	v_fma_f64 v[46:47], v[50:51], s[30:31], v[32:33]
	v_add_f64 v[28:29], v[177:178], v[28:29]
	v_mul_f64 v[175:176], v[169:170], s[48:49]
	v_add_f64 v[38:39], v[38:39], v[22:23]
	v_add_f64 v[22:23], v[18:19], v[16:17]
	v_fma_f64 v[42:43], v[139:140], s[54:55], v[42:43]
	v_add_f64 v[16:17], v[36:37], v[44:45]
	v_mul_f64 v[36:37], v[171:172], s[18:19]
	v_add_f64 v[26:27], v[40:41], v[26:27]
	v_add_f64 v[18:19], v[46:47], v[28:29]
	v_mul_f64 v[46:47], v[155:156], s[18:19]
	v_mul_f64 v[181:182], v[137:138], s[56:57]
	;; [unrolled: 1-line block ×3, first 2 shown]
	v_fma_f64 v[191:192], v[60:61], s[30:31], v[175:176]
	v_add_f64 v[20:21], v[24:25], v[20:21]
	v_fma_f64 v[179:180], v[68:69], s[20:21], v[36:37]
	v_fma_f64 v[36:37], v[68:69], s[20:21], -v[36:37]
	v_fma_f64 v[24:25], v[50:51], s[30:31], -v[32:33]
	;; [unrolled: 1-line block ×3, first 2 shown]
	v_fma_f64 v[46:47], v[153:154], s[20:21], v[46:47]
	v_fma_f64 v[32:33], v[135:136], s[22:23], v[34:35]
	v_add_f64 v[34:35], v[42:43], v[26:27]
	v_mul_f64 v[42:43], v[133:134], s[14:15]
	v_add_f64 v[179:180], v[6:7], v[179:180]
	v_fma_f64 v[194:195], v[62:63], s[26:27], v[181:182]
	v_mul_f64 v[196:197], v[163:164], s[26:27]
	v_fma_f64 v[198:199], v[151:152], s[30:31], -v[187:188]
	v_add_f64 v[189:190], v[4:5], v[189:190]
	v_fma_f64 v[175:176], v[60:61], s[30:31], -v[175:176]
	v_add_f64 v[36:37], v[6:7], v[36:37]
	v_fma_f64 v[187:188], v[151:152], s[30:31], v[187:188]
	v_add_f64 v[179:180], v[191:192], v[179:180]
	v_add_f64 v[46:47], v[4:5], v[46:47]
	v_mov_b32_e32 v127, v115
	v_mov_b32_e32 v126, v114
	;; [unrolled: 1-line block ×21, first 2 shown]
	v_mul_f64 v[40:41], v[131:132], s[28:29]
	v_fma_f64 v[185:186], v[58:59], s[16:17], v[42:43]
	v_mul_f64 v[191:192], v[167:168], s[16:17]
	v_mov_b32_e32 v73, v204
	v_mov_b32_e32 v74, v205
	;; [unrolled: 1-line block ×3, first 2 shown]
	v_fma_f64 v[203:204], v[149:150], s[36:37], v[196:197]
	v_add_f64 v[189:190], v[198:199], v[189:190]
	v_fma_f64 v[181:182], v[62:63], s[26:27], -v[181:182]
	v_add_f64 v[36:37], v[175:176], v[36:37]
	v_add_f64 v[175:176], v[194:195], v[179:180]
	v_fma_f64 v[179:180], v[149:150], s[56:57], v[196:197]
	v_add_f64 v[46:47], v[187:188], v[46:47]
	v_fma_f64 v[30:31], v[52:53], s[34:35], -v[30:31]
	v_mul_f64 v[26:27], v[129:130], s[52:53]
	v_fma_f64 v[183:184], v[56:57], s[40:41], v[40:41]
	v_mul_f64 v[187:188], v[165:166], s[40:41]
	v_fma_f64 v[194:195], v[147:148], s[42:43], v[191:192]
	v_add_f64 v[189:190], v[203:204], v[189:190]
	v_fma_f64 v[42:43], v[58:59], s[16:17], -v[42:43]
	v_add_f64 v[36:37], v[181:182], v[36:37]
	v_add_f64 v[175:176], v[185:186], v[175:176]
	v_fma_f64 v[181:182], v[147:148], s[14:15], v[191:192]
	v_add_f64 v[46:47], v[179:180], v[46:47]
	v_add_f64 v[28:29], v[30:31], v[38:39]
	v_mul_f64 v[30:31], v[70:71], s[8:9]
	v_fma_f64 v[177:178], v[54:55], s[34:35], v[26:27]
	v_mul_f64 v[179:180], v[159:160], s[34:35]
	v_fma_f64 v[185:186], v[145:146], s[44:45], v[187:188]
	v_add_f64 v[189:190], v[194:195], v[189:190]
	v_fma_f64 v[40:41], v[56:57], s[40:41], -v[40:41]
	v_add_f64 v[36:37], v[42:43], v[36:37]
	v_add_f64 v[42:43], v[183:184], v[175:176]
	v_fma_f64 v[175:176], v[145:146], s[28:29], v[187:188]
	v_add_f64 v[46:47], v[181:182], v[46:47]
	v_mul_f64 v[38:39], v[48:49], s[24:25]
	v_fma_f64 v[44:45], v[52:53], s[10:11], v[30:31]
	v_mul_f64 v[181:182], v[161:162], s[10:11]
	v_fma_f64 v[183:184], v[143:144], s[54:55], v[179:180]
	v_add_f64 v[185:186], v[185:186], v[189:190]
	v_fma_f64 v[26:27], v[54:55], s[34:35], -v[26:27]
	v_add_f64 v[36:37], v[40:41], v[36:37]
	v_add_f64 v[40:41], v[177:178], v[42:43]
	v_fma_f64 v[42:43], v[143:144], s[52:53], v[179:180]
	v_add_f64 v[46:47], v[175:176], v[46:47]
	v_mul_f64 v[175:176], v[141:142], s[38:39]
	v_fma_f64 v[177:178], v[139:140], s[58:59], v[181:182]
	v_add_f64 v[179:180], v[183:184], v[185:186]
	v_fma_f64 v[30:31], v[52:53], s[10:11], -v[30:31]
	v_add_f64 v[26:27], v[26:27], v[36:37]
	v_fma_f64 v[36:37], v[50:51], s[38:39], v[38:39]
	v_fma_f64 v[181:182], v[139:140], s[8:9], v[181:182]
	v_add_f64 v[42:43], v[42:43], v[46:47]
	v_add_f64 v[40:41], v[44:45], v[40:41]
	v_fma_f64 v[44:45], v[135:136], s[50:51], v[175:176]
	v_add_f64 v[46:47], v[177:178], v[179:180]
	v_fma_f64 v[38:39], v[50:51], s[38:39], -v[38:39]
	v_add_f64 v[177:178], v[30:31], v[26:27]
	v_fma_f64 v[175:176], v[135:136], s[24:25], v[175:176]
	v_mul_f64 v[179:180], v[171:172], s[22:23]
	v_add_f64 v[42:43], v[181:182], v[42:43]
	v_add_f64 v[30:31], v[36:37], v[40:41]
	v_mul_f64 v[40:41], v[155:156], s[22:23]
	v_add_f64 v[26:27], v[24:25], v[28:29]
	v_add_f64 v[24:25], v[32:33], v[34:35]
	;; [unrolled: 1-line block ×3, first 2 shown]
	v_mul_f64 v[38:39], v[169:170], s[42:43]
	v_mul_f64 v[183:184], v[157:158], s[42:43]
	v_add_f64 v[32:33], v[175:176], v[42:43]
	v_fma_f64 v[42:43], v[68:69], s[30:31], v[179:180]
	v_fma_f64 v[185:186], v[153:154], s[30:31], -v[40:41]
	v_mul_f64 v[175:176], v[137:138], s[54:55]
	v_fma_f64 v[179:180], v[68:69], s[30:31], -v[179:180]
	v_mul_f64 v[194:195], v[163:164], s[34:35]
	v_fma_f64 v[181:182], v[60:61], s[16:17], v[38:39]
	v_fma_f64 v[196:197], v[151:152], s[16:17], -v[183:184]
	v_mul_f64 v[189:190], v[133:134], s[50:51]
	v_add_f64 v[42:43], v[6:7], v[42:43]
	v_add_f64 v[185:186], v[4:5], v[185:186]
	v_fma_f64 v[191:192], v[62:63], s[34:35], v[175:176]
	v_fma_f64 v[38:39], v[60:61], s[16:17], -v[38:39]
	v_add_f64 v[179:180], v[6:7], v[179:180]
	v_mul_f64 v[203:204], v[167:168], s[38:39]
	v_fma_f64 v[205:206], v[149:150], s[52:53], v[194:195]
	v_fma_f64 v[198:199], v[58:59], s[38:39], v[189:190]
	v_add_f64 v[42:43], v[181:182], v[42:43]
	v_add_f64 v[185:186], v[196:197], v[185:186]
	v_mul_f64 v[181:182], v[131:132], s[8:9]
	v_fma_f64 v[175:176], v[62:63], s[34:35], -v[175:176]
	v_fma_f64 v[40:41], v[153:154], s[30:31], v[40:41]
	v_add_f64 v[38:39], v[38:39], v[179:180]
	v_mul_f64 v[179:180], v[165:166], s[10:11]
	v_fma_f64 v[196:197], v[147:148], s[24:25], v[203:204]
	v_add_f64 v[42:43], v[191:192], v[42:43]
	v_add_f64 v[185:186], v[205:206], v[185:186]
	v_add_f64 v[28:29], v[44:45], v[46:47]
	v_mul_f64 v[44:45], v[129:130], s[28:29]
	v_fma_f64 v[191:192], v[56:57], s[10:11], v[181:182]
	v_fma_f64 v[189:190], v[58:59], s[38:39], -v[189:190]
	v_fma_f64 v[183:184], v[151:152], s[16:17], v[183:184]
	v_add_f64 v[40:41], v[4:5], v[40:41]
	v_add_f64 v[42:43], v[198:199], v[42:43]
	;; [unrolled: 1-line block ×3, first 2 shown]
	v_mul_f64 v[175:176], v[159:160], s[40:41]
	v_fma_f64 v[198:199], v[145:146], s[58:59], v[179:180]
	v_add_f64 v[185:186], v[196:197], v[185:186]
	v_mul_f64 v[36:37], v[70:71], s[56:57]
	v_fma_f64 v[187:188], v[54:55], s[40:41], v[44:45]
	v_fma_f64 v[181:182], v[56:57], s[10:11], -v[181:182]
	v_add_f64 v[42:43], v[191:192], v[42:43]
	v_fma_f64 v[191:192], v[149:150], s[54:55], v[194:195]
	v_add_f64 v[40:41], v[183:184], v[40:41]
	v_add_f64 v[38:39], v[189:190], v[38:39]
	v_mul_f64 v[183:184], v[161:162], s[26:27]
	v_fma_f64 v[189:190], v[143:144], s[44:45], v[175:176]
	v_add_f64 v[185:186], v[198:199], v[185:186]
	v_fma_f64 v[177:178], v[52:53], s[26:27], v[36:37]
	v_add_f64 v[42:43], v[187:188], v[42:43]
	v_fma_f64 v[44:45], v[54:55], s[40:41], -v[44:45]
	v_fma_f64 v[187:188], v[147:148], s[50:51], v[203:204]
	v_add_f64 v[40:41], v[191:192], v[40:41]
	v_add_f64 v[38:39], v[181:182], v[38:39]
	v_mul_f64 v[181:182], v[141:142], s[20:21]
	v_fma_f64 v[191:192], v[139:140], s[36:37], v[183:184]
	v_add_f64 v[185:186], v[189:190], v[185:186]
	v_mul_f64 v[46:47], v[48:49], s[18:19]
	v_fma_f64 v[36:37], v[52:53], s[26:27], -v[36:37]
	v_fma_f64 v[179:180], v[145:146], s[8:9], v[179:180]
	v_add_f64 v[40:41], v[187:188], v[40:41]
	v_add_f64 v[38:39], v[44:45], v[38:39]
	;; [unrolled: 1-line block ×3, first 2 shown]
	v_fma_f64 v[44:45], v[135:136], s[46:47], v[181:182]
	v_add_f64 v[177:178], v[191:192], v[185:186]
	v_mul_f64 v[185:186], v[171:172], s[44:45]
	v_fma_f64 v[189:190], v[50:51], s[20:21], v[46:47]
	v_fma_f64 v[46:47], v[50:51], s[20:21], -v[46:47]
	v_fma_f64 v[175:176], v[143:144], s[28:29], v[175:176]
	v_add_f64 v[40:41], v[179:180], v[40:41]
	v_add_f64 v[179:180], v[36:37], v[38:39]
	v_mul_f64 v[187:188], v[169:170], s[8:9]
	v_add_f64 v[36:37], v[44:45], v[177:178]
	v_mul_f64 v[44:45], v[155:156], s[44:45]
	v_fma_f64 v[177:178], v[68:69], s[40:41], v[185:186]
	v_add_f64 v[38:39], v[189:190], v[42:43]
	v_fma_f64 v[183:184], v[139:140], s[56:57], v[183:184]
	v_add_f64 v[40:41], v[175:176], v[40:41]
	v_add_f64 v[42:43], v[46:47], v[179:180]
	v_mul_f64 v[46:47], v[137:138], s[48:49]
	v_fma_f64 v[175:176], v[60:61], s[10:11], v[187:188]
	v_mul_f64 v[179:180], v[157:158], s[8:9]
	v_fma_f64 v[189:190], v[153:154], s[40:41], -v[44:45]
	v_add_f64 v[177:178], v[6:7], v[177:178]
	v_mul_f64 v[194:195], v[163:164], s[30:31]
	v_add_f64 v[40:41], v[183:184], v[40:41]
	v_mul_f64 v[183:184], v[133:134], s[36:37]
	v_fma_f64 v[191:192], v[62:63], s[30:31], v[46:47]
	v_mul_f64 v[198:199], v[131:132], s[50:51]
	v_fma_f64 v[196:197], v[151:152], s[10:11], -v[179:180]
	v_add_f64 v[189:190], v[4:5], v[189:190]
	v_add_f64 v[175:176], v[175:176], v[177:178]
	v_mul_f64 v[205:206], v[167:168], s[26:27]
	v_fma_f64 v[219:220], v[149:150], s[22:23], v[194:195]
	v_fma_f64 v[203:204], v[58:59], s[26:27], v[183:184]
	v_fma_f64 v[185:186], v[68:69], s[40:41], -v[185:186]
	v_mul_f64 v[221:222], v[165:166], s[38:39]
	v_fma_f64 v[187:188], v[60:61], s[10:11], -v[187:188]
	v_add_f64 v[189:190], v[196:197], v[189:190]
	v_add_f64 v[175:176], v[191:192], v[175:176]
	v_mul_f64 v[191:192], v[129:130], s[14:15]
	v_fma_f64 v[196:197], v[56:57], s[38:39], v[198:199]
	v_fma_f64 v[223:224], v[147:148], s[56:57], v[205:206]
	v_add_f64 v[185:186], v[6:7], v[185:186]
	v_mul_f64 v[225:226], v[159:160], s[16:17]
	v_fma_f64 v[227:228], v[145:146], s[24:25], v[221:222]
	v_add_f64 v[189:190], v[219:220], v[189:190]
	v_add_f64 v[175:176], v[203:204], v[175:176]
	v_mul_f64 v[203:204], v[70:71], s[46:47]
	v_fma_f64 v[219:220], v[54:55], s[16:17], v[191:192]
	v_fma_f64 v[46:47], v[62:63], s[30:31], -v[46:47]
	v_add_f64 v[185:186], v[187:188], v[185:186]
	v_mul_f64 v[177:178], v[48:49], s[54:55]
	v_fma_f64 v[183:184], v[58:59], s[26:27], -v[183:184]
	v_add_f64 v[187:188], v[223:224], v[189:190]
	v_add_f64 v[175:176], v[196:197], v[175:176]
	v_fma_f64 v[189:190], v[52:53], s[20:21], v[203:204]
	v_mul_f64 v[196:197], v[161:162], s[20:21]
	v_fma_f64 v[223:224], v[143:144], s[42:43], v[225:226]
	v_fma_f64 v[44:45], v[153:154], s[40:41], v[44:45]
	v_add_f64 v[46:47], v[46:47], v[185:186]
	v_fma_f64 v[198:199], v[56:57], s[38:39], -v[198:199]
	v_add_f64 v[185:186], v[227:228], v[187:188]
	v_add_f64 v[175:176], v[219:220], v[175:176]
	v_mul_f64 v[187:188], v[141:142], s[34:35]
	v_fma_f64 v[219:220], v[139:140], s[18:19], v[196:197]
	v_fma_f64 v[179:180], v[151:152], s[10:11], v[179:180]
	v_add_f64 v[44:45], v[4:5], v[44:45]
	v_add_f64 v[46:47], v[183:184], v[46:47]
	v_fma_f64 v[181:182], v[135:136], s[18:19], v[181:182]
	v_add_f64 v[183:184], v[223:224], v[185:186]
	v_fma_f64 v[185:186], v[50:51], s[34:35], v[177:178]
	;; [unrolled: 2-line block ×3, first 2 shown]
	v_fma_f64 v[191:192], v[54:55], s[16:17], -v[191:192]
	v_fma_f64 v[194:195], v[149:150], s[48:49], v[194:195]
	v_add_f64 v[44:45], v[179:180], v[44:45]
	v_add_f64 v[179:180], v[198:199], v[46:47]
	;; [unrolled: 1-line block ×5, first 2 shown]
	v_mul_f64 v[185:186], v[171:172], s[50:51]
	v_fma_f64 v[181:182], v[147:148], s[36:37], v[205:206]
	v_fma_f64 v[175:176], v[52:53], s[20:21], -v[203:204]
	v_add_f64 v[194:195], v[194:195], v[44:45]
	v_add_f64 v[179:180], v[191:192], v[179:180]
	;; [unrolled: 1-line block ×3, first 2 shown]
	v_mul_f64 v[183:184], v[155:156], s[50:51]
	v_mul_f64 v[191:192], v[169:170], s[18:19]
	v_fma_f64 v[198:199], v[68:69], s[38:39], v[185:186]
	v_fma_f64 v[189:190], v[145:146], s[50:51], v[221:222]
	v_mul_f64 v[205:206], v[137:138], s[58:59]
	v_add_f64 v[181:182], v[181:182], v[194:195]
	v_mul_f64 v[194:195], v[157:158], s[18:19]
	v_add_f64 v[175:176], v[175:176], v[179:180]
	v_fma_f64 v[203:204], v[153:154], s[38:39], -v[183:184]
	v_fma_f64 v[219:220], v[60:61], s[20:21], v[191:192]
	v_add_f64 v[198:199], v[6:7], v[198:199]
	v_fma_f64 v[179:180], v[143:144], s[14:15], v[225:226]
	v_mul_f64 v[223:224], v[133:134], s[48:49]
	v_add_f64 v[181:182], v[189:190], v[181:182]
	v_fma_f64 v[189:190], v[139:140], s[46:47], v[196:197]
	v_mul_f64 v[196:197], v[163:164], s[10:11]
	v_fma_f64 v[221:222], v[151:152], s[20:21], -v[194:195]
	v_add_f64 v[203:204], v[4:5], v[203:204]
	v_fma_f64 v[225:226], v[62:63], s[10:11], v[205:206]
	v_add_f64 v[198:199], v[219:220], v[198:199]
	v_fma_f64 v[185:186], v[68:69], s[38:39], -v[185:186]
	v_add_f64 v[179:180], v[179:180], v[181:182]
	v_mul_f64 v[219:220], v[167:168], s[30:31]
	v_fma_f64 v[181:182], v[149:150], s[8:9], v[196:197]
	v_fma_f64 v[227:228], v[58:59], s[30:31], v[223:224]
	v_add_f64 v[203:204], v[221:222], v[203:204]
	v_mul_f64 v[221:222], v[131:132], s[54:55]
	v_add_f64 v[198:199], v[225:226], v[198:199]
	v_fma_f64 v[191:192], v[60:61], s[20:21], -v[191:192]
	v_add_f64 v[185:186], v[6:7], v[185:186]
	v_mul_f64 v[225:226], v[165:166], s[34:35]
	v_fma_f64 v[229:230], v[147:148], s[22:23], v[219:220]
	v_fma_f64 v[205:206], v[62:63], s[10:11], -v[205:206]
	v_add_f64 v[181:182], v[181:182], v[203:204]
	v_mul_f64 v[203:204], v[129:130], s[56:57]
	v_fma_f64 v[231:232], v[56:57], s[34:35], v[221:222]
	v_add_f64 v[198:199], v[227:228], v[198:199]
	v_add_f64 v[185:186], v[191:192], v[185:186]
	v_mul_f64 v[227:228], v[159:160], s[26:27]
	v_fma_f64 v[233:234], v[145:146], s[52:53], v[225:226]
	v_mul_f64 v[191:192], v[70:71], s[44:45]
	v_add_f64 v[181:182], v[229:230], v[181:182]
	v_fma_f64 v[229:230], v[54:55], s[26:27], v[203:204]
	v_fma_f64 v[223:224], v[58:59], s[30:31], -v[223:224]
	v_add_f64 v[198:199], v[231:232], v[198:199]
	v_add_f64 v[185:186], v[205:206], v[185:186]
	v_mul_f64 v[231:232], v[161:162], s[40:41]
	v_fma_f64 v[235:236], v[143:144], s[36:37], v[227:228]
	v_mul_f64 v[205:206], v[48:49], s[14:15]
	v_add_f64 v[181:182], v[233:234], v[181:182]
	v_fma_f64 v[233:234], v[52:53], s[40:41], v[191:192]
	v_fma_f64 v[221:222], v[56:57], s[34:35], -v[221:222]
	v_add_f64 v[198:199], v[229:230], v[198:199]
	v_add_f64 v[185:186], v[223:224], v[185:186]
	v_fma_f64 v[177:178], v[50:51], s[34:35], -v[177:178]
	v_mul_f64 v[229:230], v[141:142], s[16:17]
	v_fma_f64 v[237:238], v[139:140], s[28:29], v[231:232]
	v_add_f64 v[181:182], v[235:236], v[181:182]
	v_fma_f64 v[187:188], v[135:136], s[54:55], v[187:188]
	v_add_f64 v[179:180], v[189:190], v[179:180]
	;; [unrolled: 2-line block ×3, first 2 shown]
	v_fma_f64 v[203:204], v[54:55], s[26:27], -v[203:204]
	v_add_f64 v[185:186], v[221:222], v[185:186]
	v_fma_f64 v[183:184], v[153:154], s[38:39], v[183:184]
	v_fma_f64 v[223:224], v[135:136], s[42:43], v[229:230]
	v_add_f64 v[221:222], v[237:238], v[181:182]
	v_add_f64 v[177:178], v[177:178], v[175:176]
	;; [unrolled: 1-line block ×4, first 2 shown]
	v_fma_f64 v[187:188], v[52:53], s[40:41], -v[191:192]
	v_mul_f64 v[189:190], v[171:172], s[52:53]
	v_add_f64 v[185:186], v[203:204], v[185:186]
	v_fma_f64 v[191:192], v[151:152], s[20:21], v[194:195]
	v_mul_f64 v[194:195], v[155:156], s[52:53]
	v_add_f64 v[183:184], v[4:5], v[183:184]
	v_add_f64 v[179:180], v[223:224], v[221:222]
	v_fma_f64 v[198:199], v[50:51], s[16:17], -v[205:206]
	v_mul_f64 v[203:204], v[169:170], s[44:45]
	v_fma_f64 v[205:206], v[68:69], s[34:35], v[189:190]
	v_add_f64 v[185:186], v[187:188], v[185:186]
	v_fma_f64 v[187:188], v[149:150], s[58:59], v[196:197]
	v_mul_f64 v[196:197], v[157:158], s[44:45]
	v_fma_f64 v[221:222], v[153:154], s[34:35], -v[194:195]
	v_add_f64 v[183:184], v[191:192], v[183:184]
	v_add_f64 v[10:11], v[10:11], v[6:7]
	;; [unrolled: 1-line block ×3, first 2 shown]
	v_fma_f64 v[223:224], v[60:61], s[40:41], v[203:204]
	v_add_f64 v[205:206], v[6:7], v[205:206]
	v_fma_f64 v[219:220], v[147:148], s[48:49], v[219:220]
	v_mul_f64 v[233:234], v[163:164], s[20:21]
	v_fma_f64 v[235:236], v[151:152], s[40:41], -v[196:197]
	v_add_f64 v[221:222], v[4:5], v[221:222]
	v_add_f64 v[183:184], v[187:188], v[183:184]
	v_fma_f64 v[189:190], v[68:69], s[34:35], -v[189:190]
	v_add_f64 v[10:11], v[74:75], v[10:11]
	v_add_f64 v[8:9], v[72:73], v[8:9]
	v_mul_f64 v[191:192], v[137:138], s[18:19]
	v_add_f64 v[205:206], v[223:224], v[205:206]
	v_fma_f64 v[223:224], v[145:146], s[54:55], v[225:226]
	v_mul_f64 v[225:226], v[167:168], s[10:11]
	v_fma_f64 v[239:240], v[149:150], s[46:47], v[233:234]
	v_add_f64 v[221:222], v[235:236], v[221:222]
	v_add_f64 v[183:184], v[219:220], v[183:184]
	v_fma_f64 v[203:204], v[60:61], s[40:41], -v[203:204]
	v_add_f64 v[189:190], v[6:7], v[189:190]
	v_add_f64 v[10:11], v[78:79], v[10:11]
	;; [unrolled: 1-line block ×3, first 2 shown]
	v_mul_f64 v[187:188], v[133:134], s[8:9]
	v_fma_f64 v[237:238], v[62:63], s[20:21], v[191:192]
	v_fma_f64 v[241:242], v[147:148], s[58:59], v[225:226]
	v_add_f64 v[221:222], v[239:240], v[221:222]
	v_add_f64 v[183:184], v[223:224], v[183:184]
	v_mul_f64 v[223:224], v[129:130], s[48:49]
	v_fma_f64 v[194:195], v[153:154], s[34:35], v[194:195]
	v_fma_f64 v[191:192], v[62:63], s[20:21], -v[191:192]
	v_mul_f64 v[171:172], v[171:172], s[56:57]
	v_add_f64 v[189:190], v[203:204], v[189:190]
	v_add_f64 v[10:11], v[86:87], v[10:11]
	;; [unrolled: 1-line block ×3, first 2 shown]
	v_mul_f64 v[219:220], v[131:132], s[42:43]
	v_fma_f64 v[235:236], v[58:59], s[10:11], v[187:188]
	v_add_f64 v[221:222], v[241:242], v[221:222]
	v_fma_f64 v[241:242], v[54:55], s[30:31], v[223:224]
	v_fma_f64 v[203:204], v[54:55], s[30:31], -v[223:224]
	v_fma_f64 v[196:197], v[151:152], s[40:41], v[196:197]
	v_add_f64 v[194:195], v[4:5], v[194:195]
	v_fma_f64 v[187:188], v[58:59], s[10:11], -v[187:188]
	v_mul_f64 v[169:170], v[169:170], s[52:53]
	v_fma_f64 v[223:224], v[68:69], s[26:27], v[171:172]
	v_add_f64 v[189:190], v[191:192], v[189:190]
	v_add_f64 v[10:11], v[94:95], v[10:11]
	;; [unrolled: 1-line block ×4, first 2 shown]
	v_fma_f64 v[227:228], v[143:144], s[56:57], v[227:228]
	v_mul_f64 v[237:238], v[165:166], s[16:17]
	v_fma_f64 v[239:240], v[56:57], s[16:17], v[219:220]
	v_fma_f64 v[219:220], v[56:57], s[16:17], -v[219:220]
	v_fma_f64 v[191:192], v[149:150], s[18:19], v[233:234]
	v_add_f64 v[194:195], v[196:197], v[194:195]
	v_mul_f64 v[137:138], v[137:138], s[50:51]
	v_fma_f64 v[196:197], v[60:61], s[34:35], v[169:170]
	v_add_f64 v[223:224], v[6:7], v[223:224]
	v_add_f64 v[187:188], v[187:188], v[189:190]
	;; [unrolled: 1-line block ×4, first 2 shown]
	v_fma_f64 v[243:244], v[145:146], s[14:15], v[237:238]
	v_add_f64 v[183:184], v[227:228], v[183:184]
	v_mul_f64 v[227:228], v[70:71], s[24:25]
	v_fma_f64 v[189:190], v[147:148], s[8:9], v[225:226]
	v_add_f64 v[72:73], v[191:192], v[194:195]
	v_mul_f64 v[74:75], v[133:134], s[44:45]
	v_fma_f64 v[133:134], v[62:63], s[38:39], v[137:138]
	v_add_f64 v[191:192], v[196:197], v[223:224]
	v_add_f64 v[187:188], v[219:220], v[187:188]
	;; [unrolled: 1-line block ×5, first 2 shown]
	v_mul_f64 v[235:236], v[159:160], s[30:31]
	v_add_f64 v[221:222], v[243:244], v[221:222]
	v_fma_f64 v[243:244], v[52:53], s[38:39], v[227:228]
	v_fma_f64 v[227:228], v[52:53], s[38:39], -v[227:228]
	v_fma_f64 v[194:195], v[145:146], s[42:43], v[237:238]
	v_add_f64 v[72:73], v[189:190], v[72:73]
	v_mul_f64 v[76:77], v[131:132], s[22:23]
	v_add_f64 v[131:132], v[133:134], v[191:192]
	v_add_f64 v[133:134], v[203:204], v[187:188]
	v_mul_f64 v[112:113], v[155:156], s[56:57]
	v_fma_f64 v[68:69], v[68:69], s[26:27], -v[171:172]
	v_add_f64 v[10:11], v[118:119], v[10:11]
	v_add_f64 v[92:93], v[116:117], v[92:93]
	v_fma_f64 v[231:232], v[139:140], s[44:45], v[231:232]
	v_add_f64 v[205:206], v[239:240], v[205:206]
	v_mul_f64 v[239:240], v[161:162], s[38:39]
	v_fma_f64 v[78:79], v[58:59], s[40:41], v[74:75]
	v_fma_f64 v[187:188], v[143:144], s[48:49], v[235:236]
	v_add_f64 v[72:73], v[194:195], v[72:73]
	v_mul_f64 v[84:85], v[129:130], s[18:19]
	v_add_f64 v[129:130], v[227:228], v[133:134]
	v_mul_f64 v[133:134], v[157:158], s[52:53]
	v_fma_f64 v[116:117], v[153:154], s[26:27], v[112:113]
	v_fma_f64 v[112:113], v[153:154], s[26:27], -v[112:113]
	v_fma_f64 v[60:61], v[60:61], s[34:35], -v[169:170]
	v_add_f64 v[6:7], v[6:7], v[68:69]
	v_add_f64 v[10:11], v[126:127], v[10:11]
	;; [unrolled: 1-line block ×4, first 2 shown]
	v_mul_f64 v[231:232], v[48:49], s[36:37]
	v_add_f64 v[78:79], v[78:79], v[131:132]
	v_fma_f64 v[131:132], v[139:140], s[24:25], v[239:240]
	v_add_f64 v[72:73], v[187:188], v[72:73]
	v_mul_f64 v[118:119], v[163:164], s[38:39]
	v_fma_f64 v[68:69], v[151:152], s[34:35], v[133:134]
	v_add_f64 v[116:117], v[4:5], v[116:117]
	v_fma_f64 v[124:125], v[151:152], s[34:35], -v[133:134]
	v_add_f64 v[4:5], v[4:5], v[112:113]
	v_fma_f64 v[62:63], v[62:63], s[38:39], -v[137:138]
	v_add_f64 v[6:7], v[60:61], v[6:7]
	v_add_f64 v[10:11], v[122:123], v[10:11]
	;; [unrolled: 1-line block ×4, first 2 shown]
	v_fma_f64 v[198:199], v[50:51], s[26:27], v[231:232]
	v_fma_f64 v[231:232], v[50:51], s[26:27], -v[231:232]
	v_add_f64 v[72:73], v[131:132], v[72:73]
	v_mul_f64 v[131:132], v[167:168], s[40:41]
	v_fma_f64 v[60:61], v[149:150], s[50:51], v[118:119]
	v_add_f64 v[68:69], v[68:69], v[116:117]
	v_fma_f64 v[112:113], v[149:150], s[24:25], v[118:119]
	v_add_f64 v[4:5], v[124:125], v[4:5]
	v_fma_f64 v[58:59], v[58:59], s[40:41], -v[74:75]
	v_add_f64 v[6:7], v[62:63], v[6:7]
	v_add_f64 v[10:11], v[110:111], v[10:11]
	;; [unrolled: 1-line block ×4, first 2 shown]
	v_mul_f64 v[129:130], v[165:166], s[30:31]
	v_fma_f64 v[62:63], v[147:148], s[44:45], v[131:132]
	v_add_f64 v[60:61], v[60:61], v[68:69]
	v_fma_f64 v[68:69], v[147:148], s[28:29], v[131:132]
	v_add_f64 v[4:5], v[112:113], v[4:5]
	v_fma_f64 v[86:87], v[56:57], s[30:31], v[76:77]
	v_fma_f64 v[56:57], v[56:57], s[30:31], -v[76:77]
	v_add_f64 v[6:7], v[58:59], v[6:7]
	v_add_f64 v[10:11], v[102:103], v[10:11]
	;; [unrolled: 1-line block ×3, first 2 shown]
	v_mul_f64 v[114:115], v[159:160], s[20:21]
	v_fma_f64 v[58:59], v[145:146], s[22:23], v[129:130]
	v_add_f64 v[60:61], v[62:63], v[60:61]
	v_fma_f64 v[62:63], v[145:146], s[48:49], v[129:130]
	v_add_f64 v[4:5], v[68:69], v[4:5]
	v_mul_f64 v[70:71], v[70:71], s[14:15]
	v_fma_f64 v[94:95], v[54:55], s[20:21], v[84:85]
	v_fma_f64 v[54:55], v[54:55], s[20:21], -v[84:85]
	v_add_f64 v[6:7], v[56:57], v[6:7]
	v_add_f64 v[10:11], v[98:99], v[10:11]
	;; [unrolled: 1-line block ×4, first 2 shown]
	v_mul_f64 v[106:107], v[161:162], s[16:17]
	v_fma_f64 v[56:57], v[143:144], s[18:19], v[114:115]
	v_add_f64 v[58:59], v[58:59], v[60:61]
	v_fma_f64 v[60:61], v[143:144], s[46:47], v[114:115]
	v_add_f64 v[4:5], v[62:63], v[4:5]
	v_fma_f64 v[245:246], v[143:144], s[22:23], v[235:236]
	v_fma_f64 v[104:105], v[52:53], s[16:17], v[70:71]
	v_fma_f64 v[52:53], v[52:53], s[16:17], -v[70:71]
	v_add_f64 v[6:7], v[54:55], v[6:7]
	v_add_f64 v[10:11], v[90:91], v[10:11]
	v_add_f64 v[62:63], v[88:89], v[68:69]
	v_mul_f64 v[48:49], v[48:49], s[8:9]
	v_add_f64 v[78:79], v[94:95], v[78:79]
	v_mul_f64 v[94:95], v[141:142], s[10:11]
	v_fma_f64 v[54:55], v[139:140], s[14:15], v[106:107]
	v_add_f64 v[56:57], v[56:57], v[58:59]
	v_add_f64 v[205:206], v[241:242], v[205:206]
	v_mul_f64 v[241:242], v[141:142], s[26:27]
	v_fma_f64 v[58:59], v[139:140], s[42:43], v[106:107]
	v_add_f64 v[4:5], v[60:61], v[4:5]
	v_fma_f64 v[229:230], v[135:136], s[14:15], v[229:230]
	v_fma_f64 v[247:248], v[139:140], s[50:51], v[239:240]
	v_add_f64 v[221:222], v[245:246], v[221:222]
	v_add_f64 v[6:7], v[52:53], v[6:7]
	v_add_f64 v[10:11], v[82:83], v[10:11]
	v_add_f64 v[52:53], v[80:81], v[62:63]
	v_fma_f64 v[60:61], v[50:51], s[10:11], -v[48:49]
	v_fma_f64 v[68:69], v[135:136], s[8:9], v[94:95]
	v_add_f64 v[56:57], v[54:55], v[56:57]
	v_fma_f64 v[86:87], v[135:136], s[36:37], v[241:242]
	v_fma_f64 v[74:75], v[135:136], s[58:59], v[94:95]
	v_add_f64 v[4:5], v[58:59], v[4:5]
	v_add_f64 v[183:184], v[229:230], v[183:184]
	;; [unrolled: 1-line block ×3, first 2 shown]
	v_fma_f64 v[229:230], v[135:136], s[56:57], v[241:242]
	v_add_f64 v[221:222], v[247:248], v[221:222]
	v_fma_f64 v[62:63], v[50:51], s[10:11], v[48:49]
	v_add_f64 v[70:71], v[104:105], v[78:79]
	v_add_f64 v[54:55], v[66:67], v[10:11]
	;; [unrolled: 1-line block ×7, first 2 shown]
	v_lshl_add_u32 v4, v193, 4, v251
	v_add_f64 v[58:59], v[198:199], v[205:206]
	v_add_f64 v[56:57], v[229:230], v[221:222]
	;; [unrolled: 1-line block ×3, first 2 shown]
	ds_write_b128 v4, v[52:55]
	ds_write_b128 v4, v[48:51] offset:16
	ds_write_b128 v4, v[6:9] offset:32
	;; [unrolled: 1-line block ×16, first 2 shown]
.LBB0_13:
	s_or_b64 exec, exec, s[4:5]
	s_waitcnt lgkmcnt(0)
	s_barrier
	ds_read_b128 v[4:7], v173 offset:272
	buffer_load_dword v0, off, s[60:63], 0  ; 4-byte Folded Reload
	buffer_load_dword v1, off, s[60:63], 0 offset:4 ; 4-byte Folded Reload
	buffer_load_dword v2, off, s[60:63], 0 offset:8 ; 4-byte Folded Reload
	;; [unrolled: 1-line block ×3, first 2 shown]
	s_waitcnt vmcnt(0) lgkmcnt(0)
	v_mul_f64 v[8:9], v[2:3], v[6:7]
	v_mul_f64 v[2:3], v[2:3], v[4:5]
	v_fma_f64 v[4:5], v[0:1], v[4:5], v[8:9]
	v_fma_f64 v[6:7], v[0:1], v[6:7], -v[2:3]
	ds_read_b128 v[0:3], v173
	s_waitcnt lgkmcnt(0)
	v_add_f64 v[4:5], v[0:1], -v[4:5]
	v_add_f64 v[6:7], v[2:3], -v[6:7]
	v_fma_f64 v[0:1], v[0:1], 2.0, -v[4:5]
	v_fma_f64 v[2:3], v[2:3], 2.0, -v[6:7]
	ds_write_b128 v174, v[4:7] offset:272
	ds_write_b128 v174, v[0:3]
	s_waitcnt lgkmcnt(0)
	s_barrier
	s_and_b64 exec, exec, vcc
	s_cbranch_execz .LBB0_15
; %bb.14:
	global_load_dwordx4 v[0:3], v215, s[6:7]
	ds_read_b128 v[4:7], v216
	v_mad_u64_u32 v[8:9], s[4:5], s2, v128, 0
	v_mad_u64_u32 v[10:11], s[4:5], s0, v255, 0
	;; [unrolled: 1-line block ×4, first 2 shown]
	v_or_b32_e32 v19, 30, v255
	v_mov_b32_e32 v9, v14
	s_waitcnt vmcnt(0) lgkmcnt(0)
	v_mul_f64 v[12:13], v[6:7], v[2:3]
	v_mul_f64 v[2:3], v[4:5], v[2:3]
	v_fma_f64 v[4:5], v[4:5], v[0:1], v[12:13]
	v_fma_f64 v[0:1], v[0:1], v[6:7], -v[2:3]
	v_mad_u64_u32 v[15:16], s[2:3], s1, v255, v[11:12]
	s_mov_b32 s2, 0x1e1e1e1e
	s_mov_b32 s3, 0x3f9e1e1e
	v_lshlrev_b64 v[6:7], 4, v[8:9]
	v_mov_b32_e32 v11, v15
	v_mul_f64 v[2:3], v[4:5], s[2:3]
	v_mul_f64 v[4:5], v[0:1], s[2:3]
	v_mov_b32_e32 v12, s13
	v_lshlrev_b64 v[8:9], 4, v[10:11]
	v_add_co_u32_e32 v0, vcc, s12, v6
	v_addc_co_u32_e32 v1, vcc, v12, v7, vcc
	v_add_co_u32_e32 v6, vcc, v0, v8
	v_addc_co_u32_e32 v7, vcc, v1, v9, vcc
	global_store_dwordx4 v[6:7], v[2:5], off
	global_load_dwordx4 v[3:6], v215, s[6:7] offset:32
	v_lshl_add_u32 v2, v202, 4, v215
	ds_read_b128 v[7:10], v2 offset:32
	ds_read_b128 v[11:14], v2 offset:64
	s_waitcnt vmcnt(0) lgkmcnt(1)
	v_mul_f64 v[15:16], v[9:10], v[5:6]
	v_mul_f64 v[5:6], v[7:8], v[5:6]
	v_fma_f64 v[7:8], v[7:8], v[3:4], v[15:16]
	v_fma_f64 v[5:6], v[3:4], v[9:10], -v[5:6]
	v_mov_b32_e32 v3, v18
	v_mad_u64_u32 v[9:10], s[4:5], s1, v201, v[3:4]
	v_mov_b32_e32 v18, v9
	v_mul_f64 v[3:4], v[7:8], s[2:3]
	v_mul_f64 v[5:6], v[5:6], s[2:3]
	v_lshlrev_b64 v[7:8], 4, v[17:18]
	v_mad_u64_u32 v[9:10], s[4:5], s0, v218, 0
	v_add_co_u32_e32 v7, vcc, v0, v7
	v_addc_co_u32_e32 v8, vcc, v1, v8, vcc
	global_store_dwordx4 v[7:8], v[3:6], off
	global_load_dwordx4 v[3:6], v215, s[6:7] offset:64
	v_mad_u64_u32 v[17:18], s[4:5], s0, v217, 0
	s_waitcnt vmcnt(0) lgkmcnt(0)
	v_mul_f64 v[7:8], v[13:14], v[5:6]
	v_mul_f64 v[5:6], v[11:12], v[5:6]
	v_fma_f64 v[7:8], v[11:12], v[3:4], v[7:8]
	v_fma_f64 v[5:6], v[3:4], v[13:14], -v[5:6]
	v_mov_b32_e32 v3, v10
	v_mad_u64_u32 v[10:11], s[4:5], s1, v218, v[3:4]
	v_mul_f64 v[3:4], v[7:8], s[2:3]
	v_mul_f64 v[5:6], v[5:6], s[2:3]
	v_lshlrev_b64 v[7:8], 4, v[9:10]
	v_add_co_u32_e32 v7, vcc, v0, v7
	v_addc_co_u32_e32 v8, vcc, v1, v8, vcc
	global_store_dwordx4 v[7:8], v[3:6], off
	global_load_dwordx4 v[3:6], v215, s[6:7] offset:96
	ds_read_b128 v[7:10], v2 offset:96
	ds_read_b128 v[11:14], v2 offset:128
	s_waitcnt vmcnt(0) lgkmcnt(1)
	v_mul_f64 v[15:16], v[9:10], v[5:6]
	v_mul_f64 v[5:6], v[7:8], v[5:6]
	v_fma_f64 v[7:8], v[7:8], v[3:4], v[15:16]
	v_fma_f64 v[5:6], v[3:4], v[9:10], -v[5:6]
	v_mov_b32_e32 v3, v18
	v_mad_u64_u32 v[9:10], s[4:5], s1, v217, v[3:4]
	v_mov_b32_e32 v18, v9
	v_mul_f64 v[3:4], v[7:8], s[2:3]
	v_mul_f64 v[5:6], v[5:6], s[2:3]
	v_lshlrev_b64 v[7:8], 4, v[17:18]
	v_mad_u64_u32 v[9:10], s[4:5], s0, v214, 0
	v_add_co_u32_e32 v7, vcc, v0, v7
	v_addc_co_u32_e32 v8, vcc, v1, v8, vcc
	global_store_dwordx4 v[7:8], v[3:6], off
	global_load_dwordx4 v[3:6], v215, s[6:7] offset:128
	v_mad_u64_u32 v[17:18], s[4:5], s0, v213, 0
	s_waitcnt vmcnt(0) lgkmcnt(0)
	v_mul_f64 v[7:8], v[13:14], v[5:6]
	v_mul_f64 v[5:6], v[11:12], v[5:6]
	v_fma_f64 v[7:8], v[11:12], v[3:4], v[7:8]
	v_fma_f64 v[5:6], v[3:4], v[13:14], -v[5:6]
	v_mov_b32_e32 v3, v10
	v_mad_u64_u32 v[10:11], s[4:5], s1, v214, v[3:4]
	v_mul_f64 v[3:4], v[7:8], s[2:3]
	v_mul_f64 v[5:6], v[5:6], s[2:3]
	v_lshlrev_b64 v[7:8], 4, v[9:10]
	v_add_co_u32_e32 v7, vcc, v0, v7
	v_addc_co_u32_e32 v8, vcc, v1, v8, vcc
	global_store_dwordx4 v[7:8], v[3:6], off
	global_load_dwordx4 v[3:6], v215, s[6:7] offset:160
	;; [unrolled: 33-line block ×6, first 2 shown]
	ds_read_b128 v[7:10], v2 offset:416
	ds_read_b128 v[11:14], v2 offset:448
	s_waitcnt vmcnt(0) lgkmcnt(1)
	v_mul_f64 v[15:16], v[9:10], v[5:6]
	v_mul_f64 v[5:6], v[7:8], v[5:6]
	v_fma_f64 v[7:8], v[7:8], v[3:4], v[15:16]
	v_fma_f64 v[5:6], v[3:4], v[9:10], -v[5:6]
	v_mov_b32_e32 v3, v18
	v_mad_u64_u32 v[9:10], s[4:5], s1, v249, v[3:4]
	v_or_b32_e32 v15, 28, v255
	v_mov_b32_e32 v18, v9
	v_mul_f64 v[3:4], v[7:8], s[2:3]
	v_mul_f64 v[5:6], v[5:6], s[2:3]
	v_lshlrev_b64 v[7:8], 4, v[17:18]
	v_mad_u64_u32 v[9:10], s[4:5], s0, v15, 0
	v_add_co_u32_e32 v7, vcc, v0, v7
	v_addc_co_u32_e32 v8, vcc, v1, v8, vcc
	global_store_dwordx4 v[7:8], v[3:6], off
	global_load_dwordx4 v[3:6], v215, s[6:7] offset:448
	v_mad_u64_u32 v[17:18], s[4:5], s0, v19, 0
	s_waitcnt vmcnt(0) lgkmcnt(0)
	v_mul_f64 v[7:8], v[13:14], v[5:6]
	v_mul_f64 v[5:6], v[11:12], v[5:6]
	v_fma_f64 v[7:8], v[11:12], v[3:4], v[7:8]
	v_fma_f64 v[5:6], v[3:4], v[13:14], -v[5:6]
	v_mov_b32_e32 v3, v10
	v_mad_u64_u32 v[10:11], s[4:5], s1, v15, v[3:4]
	v_mul_f64 v[3:4], v[7:8], s[2:3]
	v_mul_f64 v[5:6], v[5:6], s[2:3]
	v_lshlrev_b64 v[7:8], 4, v[9:10]
	v_add_co_u32_e32 v7, vcc, v0, v7
	v_addc_co_u32_e32 v8, vcc, v1, v8, vcc
	global_store_dwordx4 v[7:8], v[3:6], off
	global_load_dwordx4 v[3:6], v215, s[6:7] offset:480
	ds_read_b128 v[7:10], v2 offset:480
	ds_read_b128 v[11:14], v2 offset:512
	v_mov_b32_e32 v2, v18
	s_waitcnt vmcnt(0) lgkmcnt(1)
	v_mul_f64 v[15:16], v[9:10], v[5:6]
	v_mul_f64 v[5:6], v[7:8], v[5:6]
	v_fma_f64 v[7:8], v[7:8], v[3:4], v[15:16]
	v_fma_f64 v[4:5], v[3:4], v[9:10], -v[5:6]
	v_mad_u64_u32 v[9:10], s[4:5], s1, v19, v[2:3]
	v_or_b32_e32 v10, 32, v255
	v_mov_b32_e32 v18, v9
	v_mul_f64 v[2:3], v[7:8], s[2:3]
	v_mul_f64 v[4:5], v[4:5], s[2:3]
	v_lshlrev_b64 v[6:7], 4, v[17:18]
	v_mad_u64_u32 v[8:9], s[4:5], s0, v10, 0
	v_add_co_u32_e32 v6, vcc, v0, v6
	v_addc_co_u32_e32 v7, vcc, v1, v7, vcc
	global_store_dwordx4 v[6:7], v[2:5], off
	global_load_dwordx4 v[2:5], v215, s[6:7] offset:512
	s_waitcnt vmcnt(0) lgkmcnt(0)
	v_mul_f64 v[6:7], v[13:14], v[4:5]
	v_mul_f64 v[4:5], v[11:12], v[4:5]
	v_fma_f64 v[6:7], v[11:12], v[2:3], v[6:7]
	v_fma_f64 v[4:5], v[2:3], v[13:14], -v[4:5]
	v_mov_b32_e32 v2, v9
	v_mad_u64_u32 v[9:10], s[0:1], s1, v10, v[2:3]
	v_mul_f64 v[2:3], v[6:7], s[2:3]
	v_mul_f64 v[4:5], v[4:5], s[2:3]
	v_lshlrev_b64 v[6:7], 4, v[8:9]
	v_add_co_u32_e32 v0, vcc, v0, v6
	v_addc_co_u32_e32 v1, vcc, v1, v7, vcc
	global_store_dwordx4 v[0:1], v[2:5], off
.LBB0_15:
	s_endpgm
	.section	.rodata,"a",@progbits
	.p2align	6, 0x0
	.amdhsa_kernel bluestein_single_fwd_len34_dim1_dp_op_CI_CI
		.amdhsa_group_segment_fixed_size 8160
		.amdhsa_private_segment_fixed_size 20
		.amdhsa_kernarg_size 104
		.amdhsa_user_sgpr_count 6
		.amdhsa_user_sgpr_private_segment_buffer 1
		.amdhsa_user_sgpr_dispatch_ptr 0
		.amdhsa_user_sgpr_queue_ptr 0
		.amdhsa_user_sgpr_kernarg_segment_ptr 1
		.amdhsa_user_sgpr_dispatch_id 0
		.amdhsa_user_sgpr_flat_scratch_init 0
		.amdhsa_user_sgpr_private_segment_size 0
		.amdhsa_uses_dynamic_stack 0
		.amdhsa_system_sgpr_private_segment_wavefront_offset 1
		.amdhsa_system_sgpr_workgroup_id_x 1
		.amdhsa_system_sgpr_workgroup_id_y 0
		.amdhsa_system_sgpr_workgroup_id_z 0
		.amdhsa_system_sgpr_workgroup_info 0
		.amdhsa_system_vgpr_workitem_id 0
		.amdhsa_next_free_vgpr 256
		.amdhsa_next_free_sgpr 64
		.amdhsa_reserve_vcc 1
		.amdhsa_reserve_flat_scratch 0
		.amdhsa_float_round_mode_32 0
		.amdhsa_float_round_mode_16_64 0
		.amdhsa_float_denorm_mode_32 3
		.amdhsa_float_denorm_mode_16_64 3
		.amdhsa_dx10_clamp 1
		.amdhsa_ieee_mode 1
		.amdhsa_fp16_overflow 0
		.amdhsa_exception_fp_ieee_invalid_op 0
		.amdhsa_exception_fp_denorm_src 0
		.amdhsa_exception_fp_ieee_div_zero 0
		.amdhsa_exception_fp_ieee_overflow 0
		.amdhsa_exception_fp_ieee_underflow 0
		.amdhsa_exception_fp_ieee_inexact 0
		.amdhsa_exception_int_div_zero 0
	.end_amdhsa_kernel
	.text
.Lfunc_end0:
	.size	bluestein_single_fwd_len34_dim1_dp_op_CI_CI, .Lfunc_end0-bluestein_single_fwd_len34_dim1_dp_op_CI_CI
                                        ; -- End function
	.section	.AMDGPU.csdata,"",@progbits
; Kernel info:
; codeLenInByte = 18732
; NumSgprs: 68
; NumVgprs: 256
; ScratchSize: 20
; MemoryBound: 0
; FloatMode: 240
; IeeeMode: 1
; LDSByteSize: 8160 bytes/workgroup (compile time only)
; SGPRBlocks: 8
; VGPRBlocks: 63
; NumSGPRsForWavesPerEU: 68
; NumVGPRsForWavesPerEU: 256
; Occupancy: 1
; WaveLimiterHint : 1
; COMPUTE_PGM_RSRC2:SCRATCH_EN: 1
; COMPUTE_PGM_RSRC2:USER_SGPR: 6
; COMPUTE_PGM_RSRC2:TRAP_HANDLER: 0
; COMPUTE_PGM_RSRC2:TGID_X_EN: 1
; COMPUTE_PGM_RSRC2:TGID_Y_EN: 0
; COMPUTE_PGM_RSRC2:TGID_Z_EN: 0
; COMPUTE_PGM_RSRC2:TIDIG_COMP_CNT: 0
	.type	__hip_cuid_a545ad7ab6de9919,@object ; @__hip_cuid_a545ad7ab6de9919
	.section	.bss,"aw",@nobits
	.globl	__hip_cuid_a545ad7ab6de9919
__hip_cuid_a545ad7ab6de9919:
	.byte	0                               ; 0x0
	.size	__hip_cuid_a545ad7ab6de9919, 1

	.ident	"AMD clang version 19.0.0git (https://github.com/RadeonOpenCompute/llvm-project roc-6.4.0 25133 c7fe45cf4b819c5991fe208aaa96edf142730f1d)"
	.section	".note.GNU-stack","",@progbits
	.addrsig
	.addrsig_sym __hip_cuid_a545ad7ab6de9919
	.amdgpu_metadata
---
amdhsa.kernels:
  - .args:
      - .actual_access:  read_only
        .address_space:  global
        .offset:         0
        .size:           8
        .value_kind:     global_buffer
      - .actual_access:  read_only
        .address_space:  global
        .offset:         8
        .size:           8
        .value_kind:     global_buffer
      - .actual_access:  read_only
        .address_space:  global
        .offset:         16
        .size:           8
        .value_kind:     global_buffer
      - .actual_access:  read_only
        .address_space:  global
        .offset:         24
        .size:           8
        .value_kind:     global_buffer
      - .actual_access:  read_only
        .address_space:  global
        .offset:         32
        .size:           8
        .value_kind:     global_buffer
      - .offset:         40
        .size:           8
        .value_kind:     by_value
      - .address_space:  global
        .offset:         48
        .size:           8
        .value_kind:     global_buffer
      - .address_space:  global
        .offset:         56
        .size:           8
        .value_kind:     global_buffer
      - .address_space:  global
        .offset:         64
        .size:           8
        .value_kind:     global_buffer
      - .address_space:  global
        .offset:         72
        .size:           8
        .value_kind:     global_buffer
      - .offset:         80
        .size:           4
        .value_kind:     by_value
      - .address_space:  global
        .offset:         88
        .size:           8
        .value_kind:     global_buffer
      - .address_space:  global
        .offset:         96
        .size:           8
        .value_kind:     global_buffer
    .group_segment_fixed_size: 8160
    .kernarg_segment_align: 8
    .kernarg_segment_size: 104
    .language:       OpenCL C
    .language_version:
      - 2
      - 0
    .max_flat_workgroup_size: 255
    .name:           bluestein_single_fwd_len34_dim1_dp_op_CI_CI
    .private_segment_fixed_size: 20
    .sgpr_count:     68
    .sgpr_spill_count: 0
    .symbol:         bluestein_single_fwd_len34_dim1_dp_op_CI_CI.kd
    .uniform_work_group_size: 1
    .uses_dynamic_stack: false
    .vgpr_count:     256
    .vgpr_spill_count: 4
    .wavefront_size: 64
amdhsa.target:   amdgcn-amd-amdhsa--gfx906
amdhsa.version:
  - 1
  - 2
...

	.end_amdgpu_metadata
